;; amdgpu-corpus repo=ROCm/rocFFT kind=compiled arch=gfx906 opt=O3
	.text
	.amdgcn_target "amdgcn-amd-amdhsa--gfx906"
	.amdhsa_code_object_version 6
	.protected	bluestein_single_back_len1870_dim1_dp_op_CI_CI ; -- Begin function bluestein_single_back_len1870_dim1_dp_op_CI_CI
	.globl	bluestein_single_back_len1870_dim1_dp_op_CI_CI
	.p2align	8
	.type	bluestein_single_back_len1870_dim1_dp_op_CI_CI,@function
bluestein_single_back_len1870_dim1_dp_op_CI_CI: ; @bluestein_single_back_len1870_dim1_dp_op_CI_CI
; %bb.0:
	s_mov_b64 s[66:67], s[2:3]
	s_mov_b64 s[64:65], s[0:1]
	v_mul_u32_u24_e32 v1, 0x15f, v0
	s_add_u32 s64, s64, s7
	v_add_u32_sdwa v3, s6, v1 dst_sel:DWORD dst_unused:UNUSED_PAD src0_sel:DWORD src1_sel:WORD_1
	s_addc_u32 s65, s65, 0
	v_mov_b32_e32 v2, v3
	buffer_store_dword v2, off, s[64:67], 0 offset:32 ; 4-byte Folded Spill
	s_nop 0
	buffer_store_dword v3, off, s[64:67], 0 offset:36 ; 4-byte Folded Spill
	s_load_dwordx4 s[0:3], s[4:5], 0x28
	v_mov_b32_e32 v4, 0
	s_waitcnt lgkmcnt(0)
	v_cmp_gt_u64_e32 vcc, s[0:1], v[3:4]
	s_and_saveexec_b64 s[0:1], vcc
	s_cbranch_execz .LBB0_23
; %bb.1:
	s_load_dwordx2 s[12:13], s[4:5], 0x0
	s_load_dwordx2 s[14:15], s[4:5], 0x38
	s_movk_i32 s0, 0xbb
	v_mul_lo_u16_sdwa v1, v1, s0 dst_sel:DWORD dst_unused:UNUSED_PAD src0_sel:WORD_1 src1_sel:DWORD
	v_sub_u16_e32 v180, v0, v1
	s_movk_i32 s0, 0x6e
	v_cmp_gt_u16_e64 s[0:1], s0, v180
	v_lshlrev_b32_e32 v255, 4, v180
	s_and_saveexec_b64 s[6:7], s[0:1]
	s_cbranch_execz .LBB0_3
; %bb.2:
	s_load_dwordx2 s[8:9], s[4:5], 0x18
	s_waitcnt lgkmcnt(0)
	s_load_dwordx4 s[8:11], s[8:9], 0x0
	buffer_load_dword v0, off, s[64:67], 0 offset:32 ; 4-byte Folded Reload
	buffer_load_dword v1, off, s[64:67], 0 offset:36 ; 4-byte Folded Reload
	s_waitcnt lgkmcnt(0)
	v_mad_u64_u32 v[2:3], s[16:17], s8, v180, 0
	s_waitcnt vmcnt(1)
	v_mov_b32_e32 v4, v0
	s_waitcnt vmcnt(0)
	v_mad_u64_u32 v[0:1], s[16:17], s10, v4, 0
	v_mad_u64_u32 v[4:5], s[10:11], s11, v4, v[1:2]
	;; [unrolled: 1-line block ×3, first 2 shown]
	v_mov_b32_e32 v1, v4
	v_lshlrev_b64 v[0:1], 4, v[0:1]
	v_mov_b32_e32 v3, v5
	v_mov_b32_e32 v6, s3
	v_lshlrev_b64 v[2:3], 4, v[2:3]
	v_add_co_u32_e32 v0, vcc, s2, v0
	v_addc_co_u32_e32 v1, vcc, v6, v1, vcc
	v_add_co_u32_e32 v16, vcc, v0, v2
	v_addc_co_u32_e32 v17, vcc, v1, v3, vcc
	v_mov_b32_e32 v0, s13
	v_add_co_u32_e32 v118, vcc, s12, v255
	s_mul_i32 s2, s9, 0x6e0
	s_mul_hi_u32 s3, s8, 0x6e0
	v_addc_co_u32_e32 v119, vcc, 0, v0, vcc
	s_add_i32 s2, s3, s2
	s_mul_i32 s3, s8, 0x6e0
	v_mov_b32_e32 v0, s2
	v_add_co_u32_e32 v18, vcc, s3, v16
	v_addc_co_u32_e32 v19, vcc, v17, v0, vcc
	global_load_dwordx4 v[0:3], v[16:17], off
	global_load_dwordx4 v[4:7], v[18:19], off
	global_load_dwordx4 v[8:11], v255, s[12:13]
	global_load_dwordx4 v[12:15], v255, s[12:13] offset:1760
	v_mov_b32_e32 v16, s2
	v_add_co_u32_e32 v28, vcc, s3, v18
	v_addc_co_u32_e32 v29, vcc, v19, v16, vcc
	v_mov_b32_e32 v20, s2
	v_add_co_u32_e32 v30, vcc, s3, v28
	v_addc_co_u32_e32 v31, vcc, v29, v20, vcc
	s_movk_i32 s8, 0x1000
	v_add_co_u32_e32 v40, vcc, s8, v118
	v_addc_co_u32_e32 v41, vcc, 0, v119, vcc
	global_load_dwordx4 v[16:19], v255, s[12:13] offset:3520
	global_load_dwordx4 v[20:23], v[28:29], off
	global_load_dwordx4 v[24:27], v[30:31], off
	v_mov_b32_e32 v28, s2
	v_add_co_u32_e32 v42, vcc, s3, v30
	v_addc_co_u32_e32 v43, vcc, v31, v28, vcc
	global_load_dwordx4 v[28:31], v[42:43], off
	global_load_dwordx4 v[32:35], v[40:41], off offset:1184
	global_load_dwordx4 v[36:39], v[40:41], off offset:2944
	v_mov_b32_e32 v40, s2
	v_add_co_u32_e32 v52, vcc, s3, v42
	v_addc_co_u32_e32 v53, vcc, v43, v40, vcc
	s_movk_i32 s8, 0x2000
	v_add_co_u32_e32 v54, vcc, s8, v118
	v_addc_co_u32_e32 v55, vcc, 0, v119, vcc
	global_load_dwordx4 v[40:43], v[52:53], off
	global_load_dwordx4 v[44:47], v[54:55], off offset:608
	global_load_dwordx4 v[48:51], v[54:55], off offset:2368
	v_mov_b32_e32 v54, s2
	v_add_co_u32_e32 v56, vcc, s3, v52
	v_addc_co_u32_e32 v57, vcc, v53, v54, vcc
	v_mov_b32_e32 v58, s2
	v_add_co_u32_e32 v60, vcc, s3, v56
	v_addc_co_u32_e32 v61, vcc, v57, v58, vcc
	s_movk_i32 s8, 0x3000
	v_add_co_u32_e32 v80, vcc, s8, v118
	v_addc_co_u32_e32 v81, vcc, 0, v119, vcc
	v_mov_b32_e32 v62, s2
	v_add_co_u32_e32 v72, vcc, s3, v60
	v_addc_co_u32_e32 v73, vcc, v61, v62, vcc
	v_mov_b32_e32 v74, s2
	v_add_co_u32_e32 v82, vcc, s3, v72
	v_addc_co_u32_e32 v83, vcc, v73, v74, vcc
	global_load_dwordx4 v[52:55], v[56:57], off
	v_add_co_u32_e32 v84, vcc, s3, v82
	global_load_dwordx4 v[56:59], v[60:61], off
	s_nop 0
	global_load_dwordx4 v[60:63], v[72:73], off
	global_load_dwordx4 v[64:67], v[80:81], off offset:32
	global_load_dwordx4 v[68:71], v[80:81], off offset:1792
	s_nop 0
	global_load_dwordx4 v[72:75], v[82:83], off
	global_load_dwordx4 v[76:79], v[80:81], off offset:3552
	v_mov_b32_e32 v80, s2
	v_addc_co_u32_e32 v85, vcc, v83, v80, vcc
	s_movk_i32 s8, 0x4000
	v_add_co_u32_e32 v96, vcc, s8, v118
	v_addc_co_u32_e32 v97, vcc, 0, v119, vcc
	v_mov_b32_e32 v86, s2
	v_add_co_u32_e32 v98, vcc, s3, v84
	v_addc_co_u32_e32 v99, vcc, v85, v86, vcc
	global_load_dwordx4 v[80:83], v[84:85], off
	s_nop 0
	global_load_dwordx4 v[84:87], v[98:99], off
	global_load_dwordx4 v[88:91], v[96:97], off offset:1216
	global_load_dwordx4 v[92:95], v[96:97], off offset:2976
	v_mov_b32_e32 v96, s2
	v_add_co_u32_e32 v100, vcc, s3, v98
	v_addc_co_u32_e32 v101, vcc, v99, v96, vcc
	s_movk_i32 s8, 0x5000
	v_add_co_u32_e32 v112, vcc, s8, v118
	v_addc_co_u32_e32 v113, vcc, 0, v119, vcc
	v_mov_b32_e32 v102, s2
	v_add_co_u32_e32 v114, vcc, s3, v100
	v_addc_co_u32_e32 v115, vcc, v101, v102, vcc
	global_load_dwordx4 v[96:99], v[100:101], off
	s_nop 0
	global_load_dwordx4 v[100:103], v[114:115], off
	global_load_dwordx4 v[104:107], v[112:113], off offset:640
	global_load_dwordx4 v[108:111], v[112:113], off offset:2400
	v_mov_b32_e32 v112, s2
	v_add_co_u32_e32 v116, vcc, s3, v114
	;; [unrolled: 14-line block ×3, first 2 shown]
	v_addc_co_u32_e32 v129, vcc, v129, v130, vcc
	global_load_dwordx4 v[128:131], v[128:129], off
	s_nop 0
	global_load_dwordx4 v[132:135], v[132:133], off offset:3584
	s_waitcnt vmcnt(30)
	v_mul_f64 v[138:139], v[6:7], v[14:15]
	v_mul_f64 v[14:15], v[4:5], v[14:15]
	s_waitcnt vmcnt(25)
	v_mul_f64 v[142:143], v[26:27], v[34:35]
	v_mul_f64 v[34:35], v[24:25], v[34:35]
	;; [unrolled: 1-line block ×6, first 2 shown]
	s_waitcnt vmcnt(24)
	v_mul_f64 v[144:145], v[30:31], v[38:39]
	v_mul_f64 v[38:39], v[28:29], v[38:39]
	s_waitcnt vmcnt(22)
	v_mul_f64 v[146:147], v[42:43], v[46:47]
	v_mul_f64 v[46:47], v[40:41], v[46:47]
	v_fma_f64 v[4:5], v[4:5], v[12:13], v[138:139]
	v_fma_f64 v[6:7], v[6:7], v[12:13], -v[14:15]
	v_fma_f64 v[12:13], v[24:25], v[32:33], v[142:143]
	v_fma_f64 v[14:15], v[26:27], v[32:33], -v[34:35]
	;; [unrolled: 2-line block ×3, first 2 shown]
	v_fma_f64 v[8:9], v[20:21], v[16:17], v[140:141]
	s_waitcnt vmcnt(20)
	v_mul_f64 v[24:25], v[54:55], v[50:51]
	v_mul_f64 v[26:27], v[52:53], v[50:51]
	v_fma_f64 v[10:11], v[22:23], v[16:17], -v[18:19]
	v_fma_f64 v[16:17], v[28:29], v[36:37], v[144:145]
	v_fma_f64 v[18:19], v[30:31], v[36:37], -v[38:39]
	s_waitcnt vmcnt(17)
	v_mul_f64 v[28:29], v[58:59], v[66:67]
	v_mul_f64 v[30:31], v[56:57], v[66:67]
	s_waitcnt vmcnt(16)
	v_mul_f64 v[32:33], v[62:63], v[70:71]
	v_mul_f64 v[34:35], v[60:61], v[70:71]
	v_fma_f64 v[20:21], v[40:41], v[44:45], v[146:147]
	v_fma_f64 v[22:23], v[42:43], v[44:45], -v[46:47]
	v_fma_f64 v[24:25], v[52:53], v[48:49], v[24:25]
	v_fma_f64 v[26:27], v[54:55], v[48:49], -v[26:27]
	ds_write_b128 v255, v[0:3]
	v_fma_f64 v[0:1], v[56:57], v[64:65], v[28:29]
	v_fma_f64 v[2:3], v[58:59], v[64:65], -v[30:31]
	v_fma_f64 v[28:29], v[60:61], v[68:69], v[32:33]
	v_fma_f64 v[30:31], v[62:63], v[68:69], -v[34:35]
	ds_write_b128 v255, v[4:7] offset:1760
	ds_write_b128 v255, v[8:11] offset:3520
	;; [unrolled: 1-line block ×8, first 2 shown]
	s_waitcnt vmcnt(14)
	v_mul_f64 v[0:1], v[74:75], v[78:79]
	v_mul_f64 v[2:3], v[72:73], v[78:79]
	s_waitcnt vmcnt(11)
	v_mul_f64 v[4:5], v[82:83], v[90:91]
	v_mul_f64 v[6:7], v[80:81], v[90:91]
	;; [unrolled: 3-line block ×3, first 2 shown]
	v_fma_f64 v[0:1], v[72:73], v[76:77], v[0:1]
	v_fma_f64 v[2:3], v[74:75], v[76:77], -v[2:3]
	v_fma_f64 v[4:5], v[80:81], v[88:89], v[4:5]
	v_fma_f64 v[6:7], v[82:83], v[88:89], -v[6:7]
	;; [unrolled: 2-line block ×3, first 2 shown]
	s_waitcnt vmcnt(7)
	v_mul_f64 v[12:13], v[98:99], v[106:107]
	v_mul_f64 v[14:15], v[96:97], v[106:107]
	s_waitcnt vmcnt(6)
	v_mul_f64 v[16:17], v[102:103], v[110:111]
	v_mul_f64 v[18:19], v[100:101], v[110:111]
	v_fma_f64 v[12:13], v[96:97], v[104:105], v[12:13]
	v_fma_f64 v[14:15], v[98:99], v[104:105], -v[14:15]
	v_fma_f64 v[16:17], v[100:101], v[108:109], v[16:17]
	v_fma_f64 v[18:19], v[102:103], v[108:109], -v[18:19]
	s_waitcnt vmcnt(3)
	v_mul_f64 v[20:21], v[114:115], v[122:123]
	v_mul_f64 v[22:23], v[112:113], v[122:123]
	s_waitcnt vmcnt(2)
	v_mul_f64 v[24:25], v[118:119], v[126:127]
	v_mul_f64 v[26:27], v[116:117], v[126:127]
	;; [unrolled: 3-line block ×3, first 2 shown]
	v_fma_f64 v[20:21], v[112:113], v[120:121], v[20:21]
	v_fma_f64 v[22:23], v[114:115], v[120:121], -v[22:23]
	v_fma_f64 v[24:25], v[116:117], v[124:125], v[24:25]
	v_fma_f64 v[26:27], v[118:119], v[124:125], -v[26:27]
	;; [unrolled: 2-line block ×3, first 2 shown]
	ds_write_b128 v255, v[0:3] offset:15840
	ds_write_b128 v255, v[4:7] offset:17600
	;; [unrolled: 1-line block ×8, first 2 shown]
.LBB0_3:
	s_or_b64 exec, exec, s[6:7]
	s_load_dwordx2 s[2:3], s[4:5], 0x20
	s_load_dwordx2 s[8:9], s[4:5], 0x8
	s_waitcnt vmcnt(0) lgkmcnt(0)
	s_barrier
	s_waitcnt lgkmcnt(0)
                                        ; implicit-def: $vgpr24_vgpr25
                                        ; implicit-def: $vgpr80_vgpr81
                                        ; implicit-def: $vgpr84_vgpr85
                                        ; implicit-def: $vgpr88_vgpr89
                                        ; implicit-def: $vgpr76_vgpr77
                                        ; implicit-def: $vgpr72_vgpr73
                                        ; implicit-def: $vgpr36_vgpr37
                                        ; implicit-def: $vgpr28_vgpr29
                                        ; implicit-def: $vgpr32_vgpr33
                                        ; implicit-def: $vgpr40_vgpr41
                                        ; implicit-def: $vgpr44_vgpr45
                                        ; implicit-def: $vgpr48_vgpr49
                                        ; implicit-def: $vgpr52_vgpr53
                                        ; implicit-def: $vgpr56_vgpr57
                                        ; implicit-def: $vgpr60_vgpr61
                                        ; implicit-def: $vgpr64_vgpr65
                                        ; implicit-def: $vgpr68_vgpr69
	s_and_saveexec_b64 s[4:5], s[0:1]
	s_cbranch_execz .LBB0_5
; %bb.4:
	ds_read_b128 v[24:27], v255
	ds_read_b128 v[80:83], v255 offset:1760
	ds_read_b128 v[84:87], v255 offset:3520
	;; [unrolled: 1-line block ×16, first 2 shown]
.LBB0_5:
	s_or_b64 exec, exec, s[4:5]
	s_waitcnt lgkmcnt(2)
	v_add_f64 v[185:186], v[90:91], -v[62:63]
	s_mov_b32 s28, 0x7c9e640b
	s_mov_b32 s29, 0xbfeca52d
	v_add_f64 v[174:175], v[88:89], -v[60:61]
	s_waitcnt lgkmcnt(0)
	v_add_f64 v[142:143], v[82:83], -v[70:71]
	s_mov_b32 s18, 0x5d8e7cdc
	s_mov_b32 s19, 0xbfd71e95
	v_add_f64 v[134:135], v[80:81], -v[68:69]
	v_mul_f64 v[8:9], v[185:186], s[28:29]
	v_add_f64 v[104:105], v[80:81], v[68:69]
	v_add_f64 v[170:171], v[86:87], -v[66:67]
	v_mul_f64 v[10:11], v[174:175], s[28:29]
	v_mul_f64 v[168:169], v[142:143], s[18:19]
	s_mov_b32 s4, 0x370991
	s_mov_b32 s24, 0x2a9d6da3
	;; [unrolled: 1-line block ×3, first 2 shown]
	buffer_store_dword v8, off, s[64:67], 0 offset:40 ; 4-byte Folded Spill
	s_nop 0
	buffer_store_dword v9, off, s[64:67], 0 offset:44 ; 4-byte Folded Spill
	buffer_store_dword v10, off, s[64:67], 0 offset:56 ; 4-byte Folded Spill
	s_nop 0
	buffer_store_dword v11, off, s[64:67], 0 offset:60 ; 4-byte Folded Spill
	s_mov_b32 s25, 0xbfe58eea
	v_add_f64 v[106:107], v[82:83], v[70:71]
	v_mul_f64 v[172:173], v[134:135], s[18:19]
	v_add_f64 v[156:157], v[84:85], -v[64:65]
	v_fma_f64 v[0:1], v[104:105], s[4:5], v[168:169]
	v_add_f64 v[114:115], v[84:85], v[64:65]
	v_mul_f64 v[176:177], v[170:171], s[24:25]
	s_mov_b32 s6, 0x75d4884
	s_mov_b32 s7, 0x3fe7a5f6
	v_add_f64 v[116:117], v[86:87], v[66:67]
	v_fma_f64 v[2:3], v[106:107], s[4:5], -v[172:173]
	v_mul_f64 v[183:184], v[156:157], s[24:25]
	v_add_f64 v[0:1], v[24:25], v[0:1]
	v_add_f64 v[120:121], v[88:89], v[60:61]
	v_fma_f64 v[4:5], v[114:115], s[6:7], v[176:177]
	v_add_f64 v[187:188], v[78:79], -v[58:59]
	s_mov_b32 s10, 0x2b2883cd
	s_mov_b32 s30, 0xeb564b22
	;; [unrolled: 1-line block ×4, first 2 shown]
	v_add_f64 v[2:3], v[26:27], v[2:3]
	v_fma_f64 v[6:7], v[116:117], s[6:7], -v[183:184]
	v_add_f64 v[122:123], v[90:91], v[62:63]
	v_add_f64 v[201:202], v[76:77], -v[56:57]
	v_add_f64 v[0:1], v[4:5], v[0:1]
	v_add_f64 v[132:133], v[76:77], v[56:57]
	v_add_f64 v[215:216], v[74:75], -v[54:55]
	s_mov_b32 s16, 0x3259b75e
	s_mov_b32 s38, 0x923c349f
	v_add_f64 v[2:3], v[6:7], v[2:3]
	s_mov_b32 s17, 0x3fb79ee6
	s_mov_b32 s39, 0xbfeec746
	v_add_f64 v[136:137], v[78:79], v[58:59]
	v_add_f64 v[221:222], v[72:73], -v[52:53]
	v_add_f64 v[144:145], v[72:73], v[52:53]
	v_add_f64 v[237:238], v[38:39], -v[50:51]
	s_mov_b32 s20, 0xc61f0d01
	s_mov_b32 s40, 0x6c9a05f6
	;; [unrolled: 1-line block ×4, first 2 shown]
	v_add_f64 v[146:147], v[74:75], v[54:55]
	v_add_f64 v[231:232], v[36:37], -v[48:49]
	v_add_f64 v[148:149], v[36:37], v[48:49]
	v_add_f64 v[251:252], v[30:31], -v[46:47]
	s_mov_b32 s26, 0x6ed5f1bb
	s_mov_b32 s42, 0x4363dd80
	;; [unrolled: 1-line block ×4, first 2 shown]
	v_add_f64 v[150:151], v[38:39], v[50:51]
	v_add_f64 v[249:250], v[28:29], -v[44:45]
	v_add_f64 v[160:161], v[28:29], v[44:45]
	s_mov_b32 s22, 0x910ea3b9
	s_mov_b32 s23, 0xbfeb34fa
	v_add_f64 v[162:163], v[30:31], v[46:47]
	v_mul_f64 v[16:17], v[185:186], s[40:41]
	v_mul_f64 v[18:19], v[174:175], s[40:41]
	v_add_f64 v[126:127], v[34:35], -v[42:43]
	v_add_f64 v[112:113], v[32:33], -v[40:41]
	s_mov_b32 s44, 0xacd6c6b4
	s_mov_b32 s45, 0xbfc7851a
	;; [unrolled: 1-line block ×6, first 2 shown]
	v_mul_f64 v[12:13], v[126:127], s[44:45]
	v_mul_f64 v[14:15], v[112:113], s[44:45]
	;; [unrolled: 1-line block ×4, first 2 shown]
	v_add_f64 v[178:179], v[32:33], v[40:41]
	v_add_f64 v[181:182], v[34:35], v[42:43]
	s_mov_b32 s49, 0x3feec746
	s_mov_b32 s48, s38
	;; [unrolled: 1-line block ×4, first 2 shown]
	v_mul_f64 v[92:93], v[185:186], s[56:57]
	v_fma_f64 v[4:5], v[120:121], s[10:11], v[8:9]
	v_mul_f64 v[8:9], v[187:188], s[30:31]
	v_mul_f64 v[94:95], v[174:175], s[56:57]
	v_fma_f64 v[6:7], v[122:123], s[10:11], -v[10:11]
	v_mul_f64 v[10:11], v[201:202], s[30:31]
	s_mov_b32 s51, 0x3feca52d
	s_mov_b32 s50, s28
	;; [unrolled: 1-line block ×3, first 2 shown]
	buffer_store_dword v8, off, s[64:67], 0 offset:72 ; 4-byte Folded Spill
	s_nop 0
	buffer_store_dword v9, off, s[64:67], 0 offset:76 ; 4-byte Folded Spill
	buffer_store_dword v10, off, s[64:67], 0 offset:88 ; 4-byte Folded Spill
	s_nop 0
	buffer_store_dword v11, off, s[64:67], 0 offset:92 ; 4-byte Folded Spill
	v_add_f64 v[0:1], v[4:5], v[0:1]
	v_add_f64 v[2:3], v[6:7], v[2:3]
	s_mov_b32 s52, s24
	s_mov_b32 s55, 0x3fd71e95
	;; [unrolled: 1-line block ×3, first 2 shown]
	v_mul_f64 v[96:97], v[142:143], s[30:31]
	s_mov_b32 s59, 0x3fe9895b
	s_mov_b32 s58, s40
	v_mul_f64 v[193:194], v[134:135], s[38:39]
	v_mul_f64 v[195:196], v[156:157], s[46:47]
	;; [unrolled: 1-line block ×4, first 2 shown]
	s_mov_b32 s61, 0x3fefdd0d
	s_mov_b32 s60, s30
	v_mul_f64 v[203:204], v[221:222], s[44:45]
	v_mul_f64 v[205:206], v[231:232], s[60:61]
	;; [unrolled: 1-line block ×30, first 2 shown]
	v_fma_f64 v[100:101], v[116:117], s[10:11], -v[130:131]
	v_fma_f64 v[4:5], v[132:133], s[16:17], v[8:9]
	v_mul_f64 v[8:9], v[215:216], s[38:39]
	buffer_store_dword v8, off, s[64:67], 0 offset:104 ; 4-byte Folded Spill
	s_nop 0
	buffer_store_dword v9, off, s[64:67], 0 offset:108 ; 4-byte Folded Spill
	v_fma_f64 v[6:7], v[136:137], s[16:17], -v[10:11]
	v_mul_f64 v[10:11], v[221:222], s[38:39]
	buffer_store_dword v10, off, s[64:67], 0 offset:120 ; 4-byte Folded Spill
	s_nop 0
	buffer_store_dword v11, off, s[64:67], 0 offset:124 ; 4-byte Folded Spill
	v_add_f64 v[0:1], v[4:5], v[0:1]
	v_add_f64 v[2:3], v[6:7], v[2:3]
	v_fma_f64 v[4:5], v[144:145], s[20:21], v[8:9]
	v_mul_f64 v[8:9], v[237:238], s[40:41]
	buffer_store_dword v8, off, s[64:67], 0 offset:136 ; 4-byte Folded Spill
	s_nop 0
	buffer_store_dword v9, off, s[64:67], 0 offset:140 ; 4-byte Folded Spill
	v_fma_f64 v[6:7], v[146:147], s[20:21], -v[10:11]
	v_mul_f64 v[10:11], v[231:232], s[40:41]
	buffer_store_dword v10, off, s[64:67], 0 offset:152 ; 4-byte Folded Spill
	s_nop 0
	buffer_store_dword v11, off, s[64:67], 0 offset:156 ; 4-byte Folded Spill
	v_add_f64 v[0:1], v[4:5], v[0:1]
	v_add_f64 v[2:3], v[6:7], v[2:3]
	;; [unrolled: 12-line block ×4, first 2 shown]
	v_fma_f64 v[4:5], v[104:105], s[6:7], v[8:9]
	v_mul_f64 v[8:9], v[170:171], s[30:31]
	buffer_store_dword v8, off, s[64:67], 0 offset:248 ; 4-byte Folded Spill
	s_nop 0
	buffer_store_dword v9, off, s[64:67], 0 offset:252 ; 4-byte Folded Spill
	v_fma_f64 v[6:7], v[106:107], s[6:7], -v[10:11]
	v_mul_f64 v[10:11], v[156:157], s[30:31]
	buffer_store_dword v10, off, s[64:67], 0 offset:344 ; 4-byte Folded Spill
	s_nop 0
	buffer_store_dword v11, off, s[64:67], 0 offset:348 ; 4-byte Folded Spill
	buffer_store_dword v16, off, s[64:67], 0 offset:264 ; 4-byte Folded Spill
	s_nop 0
	buffer_store_dword v17, off, s[64:67], 0 offset:268 ; 4-byte Folded Spill
	;; [unrolled: 3-line block ×3, first 2 shown]
	v_add_f64 v[4:5], v[24:25], v[4:5]
	v_add_f64 v[6:7], v[26:27], v[6:7]
	buffer_store_dword v12, off, s[64:67], 0 offset:200 ; 4-byte Folded Spill
	s_nop 0
	buffer_store_dword v13, off, s[64:67], 0 offset:204 ; 4-byte Folded Spill
	buffer_store_dword v14, off, s[64:67], 0 offset:216 ; 4-byte Folded Spill
	s_nop 0
	buffer_store_dword v15, off, s[64:67], 0 offset:220 ; 4-byte Folded Spill
	v_fma_f64 v[8:9], v[114:115], s[16:17], v[8:9]
	v_add_f64 v[4:5], v[8:9], v[4:5]
	v_fma_f64 v[10:11], v[116:117], s[16:17], -v[10:11]
	v_fma_f64 v[8:9], v[120:121], s[26:27], v[16:17]
	v_mul_f64 v[16:17], v[187:188], s[44:45]
	buffer_store_dword v16, off, s[64:67], 0 offset:280 ; 4-byte Folded Spill
	s_nop 0
	buffer_store_dword v17, off, s[64:67], 0 offset:284 ; 4-byte Folded Spill
	v_add_f64 v[6:7], v[10:11], v[6:7]
	v_fma_f64 v[10:11], v[122:123], s[26:27], -v[18:19]
	v_mul_f64 v[18:19], v[201:202], s[44:45]
	buffer_store_dword v18, off, s[64:67], 0 offset:328 ; 4-byte Folded Spill
	s_nop 0
	buffer_store_dword v19, off, s[64:67], 0 offset:332 ; 4-byte Folded Spill
	v_add_f64 v[4:5], v[8:9], v[4:5]
	v_add_f64 v[6:7], v[10:11], v[6:7]
	v_fma_f64 v[12:13], v[178:179], s[34:35], v[12:13]
	v_fma_f64 v[14:15], v[181:182], s[34:35], -v[14:15]
	v_add_f64 v[0:1], v[12:13], v[0:1]
	v_add_f64 v[2:3], v[14:15], v[2:3]
	v_fma_f64 v[8:9], v[132:133], s[34:35], v[16:17]
	v_mul_f64 v[16:17], v[215:216], s[46:47]
	buffer_store_dword v16, off, s[64:67], 0 offset:288 ; 4-byte Folded Spill
	s_nop 0
	buffer_store_dword v17, off, s[64:67], 0 offset:292 ; 4-byte Folded Spill
	v_add_f64 v[4:5], v[8:9], v[4:5]
	v_fma_f64 v[10:11], v[136:137], s[34:35], -v[18:19]
	v_mul_f64 v[18:19], v[221:222], s[46:47]
	buffer_store_dword v18, off, s[64:67], 0 offset:320 ; 4-byte Folded Spill
	s_nop 0
	buffer_store_dword v19, off, s[64:67], 0 offset:324 ; 4-byte Folded Spill
	buffer_store_dword v20, off, s[64:67], 0 offset:416 ; 4-byte Folded Spill
	s_nop 0
	buffer_store_dword v21, off, s[64:67], 0 offset:420 ; 4-byte Folded Spill
	;; [unrolled: 3-line block ×3, first 2 shown]
	v_add_f64 v[6:7], v[10:11], v[6:7]
	v_fma_f64 v[8:9], v[144:145], s[22:23], v[16:17]
	v_mul_f64 v[16:17], v[170:171], s[40:41]
	buffer_store_dword v16, off, s[64:67], 0 offset:424 ; 4-byte Folded Spill
	s_nop 0
	buffer_store_dword v17, off, s[64:67], 0 offset:428 ; 4-byte Folded Spill
	v_add_f64 v[4:5], v[8:9], v[4:5]
	v_fma_f64 v[10:11], v[146:147], s[22:23], -v[18:19]
	v_fma_f64 v[12:13], v[104:105], s[10:11], v[20:21]
	v_fma_f64 v[14:15], v[106:107], s[10:11], -v[22:23]
	v_mul_f64 v[18:19], v[156:157], s[40:41]
	v_mul_f64 v[20:21], v[237:238], s[48:49]
	;; [unrolled: 1-line block ×3, first 2 shown]
	buffer_store_dword v18, off, s[64:67], 0 offset:464 ; 4-byte Folded Spill
	s_nop 0
	buffer_store_dword v19, off, s[64:67], 0 offset:468 ; 4-byte Folded Spill
	buffer_store_dword v20, off, s[64:67], 0 offset:296 ; 4-byte Folded Spill
	s_nop 0
	buffer_store_dword v21, off, s[64:67], 0 offset:300 ; 4-byte Folded Spill
	;; [unrolled: 3-line block ×4, first 2 shown]
	v_add_f64 v[12:13], v[24:25], v[12:13]
	buffer_store_dword v94, off, s[64:67], 0 offset:472 ; 4-byte Folded Spill
	s_nop 0
	buffer_store_dword v95, off, s[64:67], 0 offset:476 ; 4-byte Folded Spill
	v_add_f64 v[14:15], v[26:27], v[14:15]
	v_add_f64 v[6:7], v[10:11], v[6:7]
	v_fma_f64 v[16:17], v[114:115], s[26:27], v[16:17]
	v_add_f64 v[12:13], v[16:17], v[12:13]
	v_fma_f64 v[18:19], v[116:117], s[26:27], -v[18:19]
	v_fma_f64 v[8:9], v[148:149], s[20:21], v[20:21]
	v_fma_f64 v[10:11], v[150:151], s[20:21], -v[22:23]
	v_fma_f64 v[16:17], v[120:121], s[34:35], v[92:93]
	v_mul_f64 v[92:93], v[187:188], s[48:49]
	buffer_store_dword v92, off, s[64:67], 0 offset:440 ; 4-byte Folded Spill
	s_nop 0
	buffer_store_dword v93, off, s[64:67], 0 offset:444 ; 4-byte Folded Spill
	v_add_f64 v[14:15], v[18:19], v[14:15]
	v_fma_f64 v[18:19], v[122:123], s[34:35], -v[94:95]
	v_mul_f64 v[94:95], v[201:202], s[48:49]
	v_mul_f64 v[20:21], v[251:252], s[50:51]
	;; [unrolled: 1-line block ×3, first 2 shown]
	v_add_f64 v[12:13], v[16:17], v[12:13]
	buffer_store_dword v94, off, s[64:67], 0 offset:480 ; 4-byte Folded Spill
	s_nop 0
	buffer_store_dword v95, off, s[64:67], 0 offset:484 ; 4-byte Folded Spill
	buffer_store_dword v20, off, s[64:67], 0 offset:304 ; 4-byte Folded Spill
	s_nop 0
	buffer_store_dword v21, off, s[64:67], 0 offset:308 ; 4-byte Folded Spill
	;; [unrolled: 3-line block ×3, first 2 shown]
	v_add_f64 v[14:15], v[18:19], v[14:15]
	v_add_f64 v[4:5], v[8:9], v[4:5]
	;; [unrolled: 1-line block ×3, first 2 shown]
	v_fma_f64 v[16:17], v[132:133], s[20:21], v[92:93]
	v_mul_f64 v[92:93], v[215:216], s[52:53]
	buffer_store_dword v92, off, s[64:67], 0 offset:448 ; 4-byte Folded Spill
	s_nop 0
	buffer_store_dword v93, off, s[64:67], 0 offset:452 ; 4-byte Folded Spill
	v_add_f64 v[12:13], v[16:17], v[12:13]
	v_fma_f64 v[18:19], v[136:137], s[20:21], -v[94:95]
	v_mul_f64 v[94:95], v[221:222], s[52:53]
	buffer_store_dword v94, off, s[64:67], 0 offset:488 ; 4-byte Folded Spill
	s_nop 0
	buffer_store_dword v95, off, s[64:67], 0 offset:492 ; 4-byte Folded Spill
	v_add_f64 v[14:15], v[18:19], v[14:15]
	v_fma_f64 v[8:9], v[160:161], s[10:11], v[20:21]
	v_fma_f64 v[10:11], v[162:163], s[10:11], -v[22:23]
	v_mul_f64 v[20:21], v[126:127], s[54:55]
	v_mul_f64 v[22:23], v[112:113], s[54:55]
	v_add_f64 v[4:5], v[8:9], v[4:5]
	v_add_f64 v[6:7], v[10:11], v[6:7]
	v_fma_f64 v[16:17], v[144:145], s[6:7], v[92:93]
	v_mul_f64 v[92:93], v[237:238], s[18:19]
	buffer_store_dword v92, off, s[64:67], 0 offset:384 ; 4-byte Folded Spill
	s_nop 0
	buffer_store_dword v93, off, s[64:67], 0 offset:388 ; 4-byte Folded Spill
	v_add_f64 v[12:13], v[16:17], v[12:13]
	v_fma_f64 v[18:19], v[146:147], s[6:7], -v[94:95]
	v_mul_f64 v[94:95], v[231:232], s[18:19]
	buffer_store_dword v94, off, s[64:67], 0 offset:496 ; 4-byte Folded Spill
	s_nop 0
	buffer_store_dword v95, off, s[64:67], 0 offset:500 ; 4-byte Folded Spill
	buffer_store_dword v20, off, s[64:67], 0 offset:312 ; 4-byte Folded Spill
	s_nop 0
	buffer_store_dword v21, off, s[64:67], 0 offset:316 ; 4-byte Folded Spill
	;; [unrolled: 3-line block ×3, first 2 shown]
	v_add_f64 v[14:15], v[18:19], v[14:15]
	v_fma_f64 v[16:17], v[148:149], s[4:5], v[92:93]
	v_mul_f64 v[92:93], v[251:252], s[30:31]
	buffer_store_dword v92, off, s[64:67], 0 offset:392 ; 4-byte Folded Spill
	s_nop 0
	buffer_store_dword v93, off, s[64:67], 0 offset:396 ; 4-byte Folded Spill
	v_add_f64 v[12:13], v[16:17], v[12:13]
	v_fma_f64 v[18:19], v[150:151], s[4:5], -v[94:95]
	v_mul_f64 v[94:95], v[249:250], s[30:31]
	buffer_store_dword v94, off, s[64:67], 0 offset:504 ; 4-byte Folded Spill
	s_nop 0
	buffer_store_dword v95, off, s[64:67], 0 offset:508 ; 4-byte Folded Spill
	v_fma_f64 v[8:9], v[178:179], s[4:5], v[20:21]
	v_add_f64 v[14:15], v[18:19], v[14:15]
	v_fma_f64 v[10:11], v[181:182], s[4:5], -v[22:23]
	v_add_f64 v[20:21], v[8:9], v[4:5]
	v_mul_f64 v[4:5], v[170:171], s[44:45]
	v_add_f64 v[22:23], v[10:11], v[6:7]
	v_fma_f64 v[16:17], v[160:161], s[16:17], v[92:93]
	v_mul_f64 v[92:93], v[126:127], s[42:43]
	buffer_store_dword v92, off, s[64:67], 0 offset:400 ; 4-byte Folded Spill
	s_nop 0
	buffer_store_dword v93, off, s[64:67], 0 offset:404 ; 4-byte Folded Spill
	v_add_f64 v[8:9], v[16:17], v[12:13]
	v_fma_f64 v[18:19], v[162:163], s[16:17], -v[94:95]
	v_mul_f64 v[94:95], v[112:113], s[42:43]
	buffer_store_dword v94, off, s[64:67], 0 offset:408 ; 4-byte Folded Spill
	s_nop 0
	buffer_store_dword v95, off, s[64:67], 0 offset:412 ; 4-byte Folded Spill
	buffer_store_dword v96, off, s[64:67], 0 offset:512 ; 4-byte Folded Spill
	s_nop 0
	buffer_store_dword v97, off, s[64:67], 0 offset:516 ; 4-byte Folded Spill
	;; [unrolled: 3-line block ×3, first 2 shown]
	v_add_f64 v[10:11], v[18:19], v[14:15]
	v_fma_f64 v[12:13], v[178:179], s[22:23], v[92:93]
	v_add_f64 v[92:93], v[12:13], v[8:9]
	v_mov_b32_e32 v9, v3
	v_mov_b32_e32 v8, v2
	;; [unrolled: 1-line block ×4, first 2 shown]
	v_mul_f64 v[0:1], v[134:135], s[30:31]
	buffer_store_dword v0, off, s[64:67], 0 offset:560 ; 4-byte Folded Spill
	s_nop 0
	buffer_store_dword v1, off, s[64:67], 0 offset:564 ; 4-byte Folded Spill
	v_fma_f64 v[14:15], v[181:182], s[22:23], -v[94:95]
	v_fma_f64 v[16:17], v[104:105], s[16:17], v[96:97]
	v_mul_f64 v[2:3], v[112:113], s[52:53]
	v_add_f64 v[94:95], v[14:15], v[10:11]
	v_add_f64 v[12:13], v[24:25], v[16:17]
	v_fma_f64 v[14:15], v[114:115], s[34:35], v[4:5]
	v_mul_f64 v[4:5], v[126:127], s[52:53]
	v_add_f64 v[12:13], v[14:15], v[12:13]
	v_fma_f64 v[14:15], v[106:107], s[16:17], -v[0:1]
	v_mul_f64 v[0:1], v[156:157], s[44:45]
	buffer_store_dword v0, off, s[64:67], 0 offset:568 ; 4-byte Folded Spill
	s_nop 0
	buffer_store_dword v1, off, s[64:67], 0 offset:572 ; 4-byte Folded Spill
	v_add_f64 v[14:15], v[26:27], v[14:15]
	v_fma_f64 v[16:17], v[116:117], s[34:35], -v[0:1]
	v_mul_f64 v[0:1], v[185:186], s[48:49]
	buffer_store_dword v0, off, s[64:67], 0 offset:544 ; 4-byte Folded Spill
	s_nop 0
	buffer_store_dword v1, off, s[64:67], 0 offset:548 ; 4-byte Folded Spill
	v_add_f64 v[14:15], v[16:17], v[14:15]
	v_fma_f64 v[16:17], v[120:121], s[20:21], v[0:1]
	v_mul_f64 v[0:1], v[174:175], s[48:49]
	buffer_store_dword v0, off, s[64:67], 0 offset:592 ; 4-byte Folded Spill
	s_nop 0
	buffer_store_dword v1, off, s[64:67], 0 offset:596 ; 4-byte Folded Spill
	v_add_f64 v[12:13], v[16:17], v[12:13]
	v_fma_f64 v[16:17], v[122:123], s[20:21], -v[0:1]
	v_mul_f64 v[0:1], v[187:188], s[54:55]
	buffer_store_dword v0, off, s[64:67], 0 offset:536 ; 4-byte Folded Spill
	s_nop 0
	buffer_store_dword v1, off, s[64:67], 0 offset:540 ; 4-byte Folded Spill
	v_add_f64 v[14:15], v[16:17], v[14:15]
	v_fma_f64 v[16:17], v[132:133], s[4:5], v[0:1]
	;; [unrolled: 12-line block ×5, first 2 shown]
	v_mul_f64 v[0:1], v[249:250], s[58:59]
	buffer_store_dword v0, off, s[64:67], 0 offset:616 ; 4-byte Folded Spill
	s_nop 0
	buffer_store_dword v1, off, s[64:67], 0 offset:620 ; 4-byte Folded Spill
	buffer_store_dword v2, off, s[64:67], 0 offset:624 ; 4-byte Folded Spill
	s_nop 0
	buffer_store_dword v3, off, s[64:67], 0 offset:628 ; 4-byte Folded Spill
	v_add_f64 v[12:13], v[16:17], v[12:13]
	v_fma_f64 v[16:17], v[162:163], s[26:27], -v[0:1]
	v_add_f64 v[14:15], v[16:17], v[14:15]
	v_fma_f64 v[16:17], v[178:179], s[6:7], v[4:5]
	v_add_f64 v[0:1], v[16:17], v[12:13]
	v_fma_f64 v[16:17], v[181:182], s[6:7], -v[2:3]
	v_mov_b32_e32 v10, v20
	v_mov_b32_e32 v11, v21
	v_mov_b32_e32 v12, v22
	v_mov_b32_e32 v13, v23
	v_fma_f64 v[20:21], v[116:117], s[22:23], -v[195:196]
	v_fma_f64 v[22:23], v[114:115], s[20:21], v[213:214]
	v_add_f64 v[2:3], v[16:17], v[14:15]
	v_mul_f64 v[14:15], v[142:143], s[38:39]
	buffer_store_dword v14, off, s[64:67], 0 offset:632 ; 4-byte Folded Spill
	s_nop 0
	buffer_store_dword v15, off, s[64:67], 0 offset:636 ; 4-byte Folded Spill
	v_fma_f64 v[16:17], v[104:105], s[20:21], v[14:15]
	v_mul_f64 v[14:15], v[170:171], s[46:47]
	buffer_store_dword v14, off, s[64:67], 0 offset:640 ; 4-byte Folded Spill
	s_nop 0
	buffer_store_dword v15, off, s[64:67], 0 offset:644 ; 4-byte Folded Spill
	v_add_f64 v[16:17], v[24:25], v[16:17]
	v_fma_f64 v[18:19], v[114:115], s[22:23], v[14:15]
	v_mul_f64 v[14:15], v[185:186], s[52:53]
	buffer_store_dword v14, off, s[64:67], 0 offset:656 ; 4-byte Folded Spill
	s_nop 0
	buffer_store_dword v15, off, s[64:67], 0 offset:660 ; 4-byte Folded Spill
	v_add_f64 v[16:17], v[18:19], v[16:17]
	v_fma_f64 v[18:19], v[106:107], s[20:21], -v[193:194]
	v_add_f64 v[18:19], v[26:27], v[18:19]
	v_add_f64 v[18:19], v[20:21], v[18:19]
	v_fma_f64 v[20:21], v[120:121], s[6:7], v[14:15]
	v_mul_f64 v[14:15], v[187:188], s[28:29]
	buffer_store_dword v14, off, s[64:67], 0 offset:648 ; 4-byte Folded Spill
	s_nop 0
	buffer_store_dword v15, off, s[64:67], 0 offset:652 ; 4-byte Folded Spill
	v_add_f64 v[16:17], v[20:21], v[16:17]
	v_fma_f64 v[20:21], v[122:123], s[6:7], -v[199:200]
	v_add_f64 v[18:19], v[20:21], v[18:19]
	v_fma_f64 v[20:21], v[132:133], s[10:11], v[14:15]
	v_mul_f64 v[14:15], v[215:216], s[44:45]
	buffer_store_dword v14, off, s[64:67], 0 offset:664 ; 4-byte Folded Spill
	s_nop 0
	buffer_store_dword v15, off, s[64:67], 0 offset:668 ; 4-byte Folded Spill
	v_add_f64 v[16:17], v[20:21], v[16:17]
	v_fma_f64 v[20:21], v[136:137], s[10:11], -v[197:198]
	;; [unrolled: 8-line block ×3, first 2 shown]
	v_add_f64 v[18:19], v[20:21], v[18:19]
	v_fma_f64 v[20:21], v[148:149], s[16:17], v[14:15]
	v_add_f64 v[16:17], v[20:21], v[16:17]
	v_fma_f64 v[20:21], v[150:151], s[16:17], -v[205:206]
	v_add_f64 v[18:19], v[20:21], v[18:19]
	v_fma_f64 v[20:21], v[160:161], s[4:5], v[189:190]
	v_add_f64 v[16:17], v[20:21], v[16:17]
	v_fma_f64 v[20:21], v[162:163], s[4:5], -v[207:208]
	;; [unrolled: 4-line block ×3, first 2 shown]
	v_mov_b32_e32 v14, v92
	v_mov_b32_e32 v15, v93
	;; [unrolled: 1-line block ×4, first 2 shown]
	v_fma_f64 v[92:93], v[116:117], s[20:21], -v[235:236]
	v_add_f64 v[98:99], v[20:21], v[18:19]
	v_fma_f64 v[20:21], v[104:105], s[26:27], v[211:212]
	buffer_store_dword v96, off, s[64:67], 0 ; 4-byte Folded Spill
	s_nop 0
	buffer_store_dword v97, off, s[64:67], 0 offset:4 ; 4-byte Folded Spill
	buffer_store_dword v98, off, s[64:67], 0 offset:8 ; 4-byte Folded Spill
	;; [unrolled: 1-line block ×3, first 2 shown]
	v_add_f64 v[20:21], v[24:25], v[20:21]
	v_add_f64 v[20:21], v[22:23], v[20:21]
	v_fma_f64 v[22:23], v[106:107], s[26:27], -v[233:234]
	v_add_f64 v[22:23], v[26:27], v[22:23]
	v_add_f64 v[22:23], v[92:93], v[22:23]
	v_fma_f64 v[92:93], v[120:121], s[4:5], v[219:220]
	v_add_f64 v[20:21], v[92:93], v[20:21]
	v_fma_f64 v[92:93], v[122:123], s[4:5], -v[241:242]
	v_add_f64 v[22:23], v[92:93], v[22:23]
	v_fma_f64 v[92:93], v[132:133], s[22:23], v[217:218]
	v_add_f64 v[20:21], v[92:93], v[20:21]
	v_fma_f64 v[92:93], v[136:137], s[22:23], -v[239:240]
	;; [unrolled: 4-line block ×5, first 2 shown]
	v_add_f64 v[22:23], v[92:93], v[22:23]
	v_fma_f64 v[92:93], v[178:179], s[10:11], v[229:230]
	v_add_f64 v[18:19], v[92:93], v[20:21]
	v_mul_f64 v[92:93], v[112:113], s[50:51]
	v_fma_f64 v[94:95], v[181:182], s[10:11], -v[92:93]
	v_add_f64 v[20:21], v[94:95], v[22:23]
	v_fma_f64 v[94:95], v[104:105], s[22:23], v[253:254]
	buffer_store_dword v18, off, s[64:67], 0 offset:16 ; 4-byte Folded Spill
	s_nop 0
	buffer_store_dword v19, off, s[64:67], 0 offset:20 ; 4-byte Folded Spill
	buffer_store_dword v20, off, s[64:67], 0 offset:24 ; 4-byte Folded Spill
	;; [unrolled: 1-line block ×3, first 2 shown]
	v_add_f64 v[96:97], v[24:25], v[94:95]
	v_mul_f64 v[94:95], v[170:171], s[50:51]
	v_mov_b32_e32 v22, v3
	v_mov_b32_e32 v21, v2
	;; [unrolled: 1-line block ×4, first 2 shown]
	v_mul_lo_u16_e32 v18, 17, v180
	s_waitcnt vmcnt(0)
	s_barrier
	v_fma_f64 v[98:99], v[114:115], s[10:11], v[94:95]
	v_add_f64 v[96:97], v[98:99], v[96:97]
	v_fma_f64 v[98:99], v[106:107], s[22:23], -v[128:129]
	v_add_f64 v[98:99], v[26:27], v[98:99]
	v_add_f64 v[100:101], v[100:101], v[98:99]
	v_mul_f64 v[98:99], v[185:186], s[30:31]
	v_fma_f64 v[102:103], v[120:121], s[16:17], v[98:99]
	v_add_f64 v[102:103], v[102:103], v[96:97]
	v_fma_f64 v[96:97], v[122:123], s[16:17], -v[140:141]
	v_add_f64 v[100:101], v[96:97], v[100:101]
	v_mul_f64 v[96:97], v[187:188], s[58:59]
	v_fma_f64 v[108:109], v[132:133], s[26:27], v[96:97]
	v_add_f64 v[102:103], v[108:109], v[102:103]
	v_fma_f64 v[108:109], v[136:137], s[26:27], -v[138:139]
	;; [unrolled: 5-line block ×6, first 2 shown]
	v_add_f64 v[102:103], v[102:103], v[166:167]
	s_and_saveexec_b64 s[36:37], s[0:1]
	s_cbranch_execz .LBB0_7
; %bb.6:
	v_add_f64 v[80:81], v[24:25], v[80:81]
	v_add_f64 v[82:83], v[26:27], v[82:83]
	v_mul_f64 v[142:143], v[142:143], s[44:45]
	v_mul_f64 v[166:167], v[170:171], s[54:55]
	buffer_store_dword v168, off, s[64:67], 0 offset:680 ; 4-byte Folded Spill
	s_nop 0
	buffer_store_dword v169, off, s[64:67], 0 offset:684 ; 4-byte Folded Spill
	buffer_store_dword v172, off, s[64:67], 0 offset:696 ; 4-byte Folded Spill
	s_nop 0
	buffer_store_dword v173, off, s[64:67], 0 offset:700 ; 4-byte Folded Spill
	;; [unrolled: 3-line block ×4, first 2 shown]
	v_add_f64 v[80:81], v[80:81], v[84:85]
	v_mul_f64 v[84:85], v[106:107], s[34:35]
	v_add_f64 v[82:83], v[82:83], v[86:87]
	v_mul_f64 v[86:87], v[116:117], s[4:5]
	v_fma_f64 v[170:171], v[114:115], s[4:5], v[166:167]
	v_mul_f64 v[2:3], v[251:252], s[38:39]
	v_mul_f64 v[251:252], v[181:182], s[16:17]
	;; [unrolled: 1-line block ×3, first 2 shown]
	v_add_f64 v[88:89], v[80:81], v[88:89]
	v_fma_f64 v[80:81], v[134:135], s[56:57], v[84:85]
	v_add_f64 v[90:91], v[82:83], v[90:91]
	v_fma_f64 v[82:83], v[156:157], s[18:19], v[86:87]
	v_fma_f64 v[86:87], v[156:157], s[54:55], v[86:87]
	v_add_f64 v[80:81], v[26:27], v[80:81]
	v_add_f64 v[80:81], v[82:83], v[80:81]
	v_fma_f64 v[82:83], v[104:105], s[34:35], v[142:143]
	v_add_f64 v[82:83], v[24:25], v[82:83]
	v_add_f64 v[82:83], v[170:171], v[82:83]
	v_mul_f64 v[170:171], v[122:123], s[22:23]
	v_fma_f64 v[168:169], v[174:175], s[46:47], v[170:171]
	v_add_f64 v[80:81], v[168:169], v[80:81]
	v_mul_f64 v[168:169], v[185:186], s[42:43]
	v_fma_f64 v[185:186], v[120:121], s[22:23], v[168:169]
	;; [unrolled: 3-line block ×9, first 2 shown]
	v_add_f64 v[0:1], v[0:1], v[80:81]
	v_fma_f64 v[80:81], v[160:161], s[20:21], v[2:3]
	v_fma_f64 v[2:3], v[160:161], s[20:21], -v[2:3]
	v_add_f64 v[80:81], v[80:81], v[82:83]
	v_fma_f64 v[82:83], v[112:113], s[30:31], v[251:252]
	v_add_f64 v[82:83], v[82:83], v[0:1]
	v_fma_f64 v[0:1], v[178:179], s[16:17], v[126:127]
	;; [unrolled: 2-line block ×3, first 2 shown]
	v_fma_f64 v[84:85], v[174:175], s[42:43], v[170:171]
	v_fma_f64 v[134:135], v[114:115], s[4:5], -v[166:167]
	v_add_f64 v[0:1], v[26:27], v[0:1]
	v_add_f64 v[0:1], v[86:87], v[0:1]
	v_fma_f64 v[86:87], v[201:202], s[52:53], v[185:186]
	v_add_f64 v[0:1], v[84:85], v[0:1]
	v_fma_f64 v[84:85], v[221:222], s[40:41], v[187:188]
	;; [unrolled: 2-line block ×4, first 2 shown]
	v_fma_f64 v[112:113], v[249:250], s[38:39], v[237:238]
	v_add_f64 v[0:1], v[86:87], v[0:1]
	v_fma_f64 v[86:87], v[104:105], s[34:35], -v[142:143]
	v_add_f64 v[0:1], v[112:113], v[0:1]
	v_add_f64 v[86:87], v[24:25], v[86:87]
	v_fma_f64 v[112:113], v[120:121], s[22:23], -v[168:169]
	v_add_f64 v[86:87], v[134:135], v[86:87]
	;; [unrolled: 3-line block ×3, first 2 shown]
	v_fma_f64 v[112:113], v[144:145], s[26:27], -v[176:177]
	v_add_f64 v[86:87], v[112:113], v[86:87]
	v_fma_f64 v[112:113], v[148:149], s[10:11], -v[183:184]
	v_add_f64 v[86:87], v[112:113], v[86:87]
	;; [unrolled: 2-line block ×3, first 2 shown]
	v_add_f64 v[86:87], v[84:85], v[0:1]
	v_add_f64 v[0:1], v[90:91], v[78:79]
	v_mul_f64 v[78:79], v[106:107], s[22:23]
	v_mul_f64 v[90:91], v[104:105], s[22:23]
	v_add_f64 v[84:85], v[112:113], v[2:3]
	v_add_f64 v[2:3], v[88:89], v[76:77]
	v_mul_f64 v[88:89], v[116:117], s[10:11]
	v_add_f64 v[78:79], v[128:129], v[78:79]
	v_mul_f64 v[76:77], v[122:123], s[16:17]
	v_add_f64 v[90:91], v[90:91], -v[253:254]
	v_add_f64 v[0:1], v[0:1], v[74:75]
	v_mul_f64 v[74:75], v[106:107], s[26:27]
	v_add_f64 v[2:3], v[2:3], v[72:73]
	v_add_f64 v[88:89], v[130:131], v[88:89]
	;; [unrolled: 1-line block ×5, first 2 shown]
	v_mul_f64 v[72:73], v[122:123], s[4:5]
	v_add_f64 v[74:75], v[233:234], v[74:75]
	v_add_f64 v[0:1], v[0:1], v[38:39]
	;; [unrolled: 1-line block ×4, first 2 shown]
	v_mul_f64 v[88:89], v[136:137], s[26:27]
	v_add_f64 v[72:73], v[241:242], v[72:73]
	v_add_f64 v[74:75], v[26:27], v[74:75]
	;; [unrolled: 1-line block ×6, first 2 shown]
	v_mul_f64 v[78:79], v[146:147], s[4:5]
	v_add_f64 v[0:1], v[0:1], v[34:35]
	v_add_f64 v[2:3], v[2:3], v[32:33]
	;; [unrolled: 1-line block ×4, first 2 shown]
	v_mul_f64 v[88:89], v[150:151], s[34:35]
	v_mul_f64 v[152:153], v[144:145], s[6:7]
	v_add_f64 v[0:1], v[0:1], v[42:43]
	v_add_f64 v[2:3], v[2:3], v[40:41]
	;; [unrolled: 1-line block ×4, first 2 shown]
	v_mul_f64 v[78:79], v[162:163], s[6:7]
	v_add_f64 v[0:1], v[0:1], v[46:47]
	v_add_f64 v[2:3], v[2:3], v[44:45]
	v_add_f64 v[76:77], v[88:89], v[76:77]
	v_add_f64 v[78:79], v[158:159], v[78:79]
	v_mul_f64 v[88:89], v[181:182], s[20:21]
	v_add_f64 v[0:1], v[0:1], v[50:51]
	v_add_f64 v[2:3], v[2:3], v[48:49]
	v_add_f64 v[76:77], v[78:79], v[76:77]
	v_mul_f64 v[78:79], v[120:121], s[16:17]
	v_add_f64 v[88:89], v[164:165], v[88:89]
	v_add_f64 v[0:1], v[0:1], v[54:55]
	;; [unrolled: 1-line block ×3, first 2 shown]
	v_add_f64 v[78:79], v[78:79], -v[98:99]
	v_mul_f64 v[98:99], v[114:115], s[10:11]
	v_add_f64 v[0:1], v[0:1], v[58:59]
	v_add_f64 v[2:3], v[2:3], v[56:57]
	v_add_f64 v[94:95], v[98:99], -v[94:95]
	buffer_load_dword v98, off, s[64:67], 0 offset:656 ; 4-byte Folded Reload
	buffer_load_dword v99, off, s[64:67], 0 offset:660 ; 4-byte Folded Reload
	v_add_f64 v[0:1], v[0:1], v[62:63]
	v_add_f64 v[2:3], v[2:3], v[60:61]
	;; [unrolled: 1-line block ×3, first 2 shown]
	v_mul_f64 v[94:95], v[132:133], s[26:27]
	v_add_f64 v[0:1], v[0:1], v[66:67]
	v_add_f64 v[2:3], v[2:3], v[64:65]
	;; [unrolled: 1-line block ×3, first 2 shown]
	v_add_f64 v[94:95], v[94:95], -v[96:97]
	v_mul_f64 v[90:91], v[144:145], s[4:5]
	v_add_f64 v[78:79], v[94:95], v[78:79]
	v_add_f64 v[90:91], v[90:91], -v[108:109]
	v_mul_f64 v[94:95], v[148:149], s[34:35]
	buffer_load_dword v108, off, s[64:67], 0 offset:632 ; 4-byte Folded Reload
	buffer_load_dword v109, off, s[64:67], 0 offset:636 ; 4-byte Folded Reload
	v_add_f64 v[78:79], v[90:91], v[78:79]
	v_add_f64 v[94:95], v[94:95], -v[110:111]
	v_mul_f64 v[90:91], v[160:161], s[6:7]
	buffer_load_dword v110, off, s[64:67], 0 offset:640 ; 4-byte Folded Reload
	buffer_load_dword v111, off, s[64:67], 0 offset:644 ; 4-byte Folded Reload
	v_add_f64 v[78:79], v[94:95], v[78:79]
	v_add_f64 v[90:91], v[90:91], -v[118:119]
	v_mul_f64 v[94:95], v[178:179], s[20:21]
	v_add_f64 v[90:91], v[90:91], v[78:79]
	v_add_f64 v[78:79], v[88:89], v[76:77]
	v_mul_f64 v[88:89], v[116:117], s[20:21]
	v_add_f64 v[94:95], v[94:95], -v[124:125]
	v_add_f64 v[88:89], v[235:236], v[88:89]
	v_add_f64 v[76:77], v[94:95], v[90:91]
	v_mul_f64 v[90:91], v[104:105], s[26:27]
	v_mul_f64 v[94:95], v[116:117], s[22:23]
	v_add_f64 v[74:75], v[88:89], v[74:75]
	v_mul_f64 v[88:89], v[136:137], s[22:23]
	v_add_f64 v[90:91], v[90:91], -v[211:212]
	v_add_f64 v[94:95], v[195:196], v[94:95]
	v_add_f64 v[72:73], v[72:73], v[74:75]
	;; [unrolled: 1-line block ×3, first 2 shown]
	v_mul_f64 v[74:75], v[146:147], s[16:17]
	v_add_f64 v[90:91], v[24:25], v[90:91]
	v_add_f64 v[72:73], v[88:89], v[72:73]
	;; [unrolled: 1-line block ×3, first 2 shown]
	v_mul_f64 v[88:89], v[150:151], s[6:7]
	v_add_f64 v[72:73], v[74:75], v[72:73]
	v_add_f64 v[88:89], v[245:246], v[88:89]
	v_mul_f64 v[74:75], v[162:163], s[34:35]
	v_add_f64 v[72:73], v[88:89], v[72:73]
	v_mul_f64 v[88:89], v[181:182], s[10:11]
	v_add_f64 v[74:75], v[247:248], v[74:75]
	v_add_f64 v[88:89], v[92:93], v[88:89]
	v_mul_f64 v[92:93], v[114:115], s[20:21]
	v_add_f64 v[72:73], v[74:75], v[72:73]
	v_mul_f64 v[74:75], v[120:121], s[4:5]
	v_add_f64 v[92:93], v[92:93], -v[213:214]
	v_add_f64 v[72:73], v[88:89], v[72:73]
	v_add_f64 v[74:75], v[74:75], -v[219:220]
	v_add_f64 v[90:91], v[92:93], v[90:91]
	v_mul_f64 v[92:93], v[132:133], s[22:23]
	v_add_f64 v[74:75], v[74:75], v[90:91]
	v_add_f64 v[92:93], v[92:93], -v[217:218]
	v_mul_f64 v[90:91], v[144:145], s[16:17]
	v_add_f64 v[74:75], v[92:93], v[74:75]
	v_add_f64 v[90:91], v[90:91], -v[223:224]
	;; [unrolled: 3-line block ×3, first 2 shown]
	v_mul_f64 v[90:91], v[160:161], s[34:35]
	v_add_f64 v[74:75], v[92:93], v[74:75]
	v_mul_f64 v[92:93], v[178:179], s[10:11]
	v_add_f64 v[90:91], v[90:91], -v[227:228]
	v_add_f64 v[96:97], v[92:93], -v[229:230]
	v_mul_f64 v[92:93], v[106:107], s[20:21]
	v_add_f64 v[74:75], v[90:91], v[74:75]
	v_mul_f64 v[90:91], v[122:123], s[6:7]
	v_add_f64 v[92:93], v[193:194], v[92:93]
	v_add_f64 v[90:91], v[199:200], v[90:91]
	;; [unrolled: 1-line block ×4, first 2 shown]
	v_mul_f64 v[94:95], v[136:137], s[10:11]
	v_add_f64 v[90:91], v[90:91], v[92:93]
	v_add_f64 v[94:95], v[197:198], v[94:95]
	v_mul_f64 v[92:93], v[146:147], s[34:35]
	v_add_f64 v[90:91], v[94:95], v[90:91]
	v_add_f64 v[92:93], v[203:204], v[92:93]
	v_mul_f64 v[94:95], v[150:151], s[16:17]
	v_add_f64 v[90:91], v[92:93], v[90:91]
	v_add_f64 v[94:95], v[205:206], v[94:95]
	v_mul_f64 v[92:93], v[162:163], s[4:5]
	v_add_f64 v[90:91], v[94:95], v[90:91]
	v_add_f64 v[92:93], v[207:208], v[92:93]
	v_mul_f64 v[94:95], v[181:182], s[26:27]
	v_add_f64 v[90:91], v[92:93], v[90:91]
	v_mul_f64 v[92:93], v[120:121], s[6:7]
	v_add_f64 v[94:95], v[209:210], v[94:95]
	s_waitcnt vmcnt(4)
	v_add_f64 v[92:93], v[92:93], -v[98:99]
	v_mul_f64 v[98:99], v[104:105], s[20:21]
	v_add_f64 v[90:91], v[94:95], v[90:91]
	s_waitcnt vmcnt(2)
	v_add_f64 v[98:99], v[98:99], -v[108:109]
	;; [unrolled: 4-line block ×3, first 2 shown]
	buffer_load_dword v110, off, s[64:67], 0 offset:648 ; 4-byte Folded Reload
	buffer_load_dword v111, off, s[64:67], 0 offset:652 ; 4-byte Folded Reload
	v_add_f64 v[98:99], v[108:109], v[98:99]
	v_mul_f64 v[108:109], v[132:133], s[10:11]
	v_add_f64 v[92:93], v[92:93], v[98:99]
	v_mul_f64 v[98:99], v[144:145], s[34:35]
	s_waitcnt vmcnt(0)
	v_add_f64 v[108:109], v[108:109], -v[110:111]
	buffer_load_dword v110, off, s[64:67], 0 offset:664 ; 4-byte Folded Reload
	buffer_load_dword v111, off, s[64:67], 0 offset:668 ; 4-byte Folded Reload
	v_add_f64 v[92:93], v[108:109], v[92:93]
	v_mul_f64 v[108:109], v[148:149], s[16:17]
	s_waitcnt vmcnt(0)
	v_add_f64 v[98:99], v[98:99], -v[110:111]
	buffer_load_dword v110, off, s[64:67], 0 offset:672 ; 4-byte Folded Reload
	buffer_load_dword v111, off, s[64:67], 0 offset:676 ; 4-byte Folded Reload
	v_add_f64 v[92:93], v[98:99], v[92:93]
	v_mul_f64 v[98:99], v[160:161], s[4:5]
	v_add_f64 v[98:99], v[98:99], -v[189:190]
	s_waitcnt vmcnt(0)
	v_add_f64 v[108:109], v[108:109], -v[110:111]
	buffer_load_dword v110, off, s[64:67], 0 offset:592 ; 4-byte Folded Reload
	buffer_load_dword v111, off, s[64:67], 0 offset:596 ; 4-byte Folded Reload
	;; [unrolled: 1-line block ×6, first 2 shown]
	v_add_f64 v[92:93], v[108:109], v[92:93]
	v_mul_f64 v[108:109], v[178:179], s[26:27]
	v_add_f64 v[98:99], v[98:99], v[92:93]
	v_mul_f64 v[92:93], v[122:123], s[20:21]
	v_add_f64 v[108:109], v[108:109], -v[191:192]
	s_waitcnt vmcnt(4)
	v_add_f64 v[92:93], v[110:111], v[92:93]
	v_mul_f64 v[110:111], v[106:107], s[16:17]
	s_waitcnt vmcnt(2)
	v_add_f64 v[110:111], v[112:113], v[110:111]
	v_mul_f64 v[112:113], v[116:117], s[34:35]
	v_add_f64 v[110:111], v[26:27], v[110:111]
	s_waitcnt vmcnt(0)
	v_add_f64 v[112:113], v[118:119], v[112:113]
	buffer_load_dword v118, off, s[64:67], 0 offset:584 ; 4-byte Folded Reload
	buffer_load_dword v119, off, s[64:67], 0 offset:588 ; 4-byte Folded Reload
	v_add_f64 v[110:111], v[112:113], v[110:111]
	v_mul_f64 v[112:113], v[136:137], s[4:5]
	v_add_f64 v[92:93], v[92:93], v[110:111]
	v_mul_f64 v[110:111], v[146:147], s[10:11]
	s_waitcnt vmcnt(0)
	v_add_f64 v[112:113], v[118:119], v[112:113]
	buffer_load_dword v118, off, s[64:67], 0 offset:600 ; 4-byte Folded Reload
	buffer_load_dword v119, off, s[64:67], 0 offset:604 ; 4-byte Folded Reload
	v_add_f64 v[92:93], v[112:113], v[92:93]
	v_mul_f64 v[112:113], v[150:151], s[22:23]
	s_waitcnt vmcnt(0)
	v_add_f64 v[110:111], v[118:119], v[110:111]
	buffer_load_dword v118, off, s[64:67], 0 offset:608 ; 4-byte Folded Reload
	buffer_load_dword v119, off, s[64:67], 0 offset:612 ; 4-byte Folded Reload
	;; [unrolled: 6-line block ×5, first 2 shown]
	buffer_load_dword v124, off, s[64:67], 0 offset:544 ; 4-byte Folded Reload
	buffer_load_dword v125, off, s[64:67], 0 offset:548 ; 4-byte Folded Reload
	;; [unrolled: 1-line block ×6, first 2 shown]
	v_add_f64 v[94:95], v[112:113], v[92:93]
	s_waitcnt vmcnt(6)
	v_add_f64 v[110:111], v[110:111], -v[118:119]
	v_mul_f64 v[118:119], v[120:121], s[20:21]
	s_waitcnt vmcnt(4)
	v_add_f64 v[118:119], v[118:119], -v[124:125]
	v_mul_f64 v[124:125], v[104:105], s[16:17]
	;; [unrolled: 3-line block ×3, first 2 shown]
	v_add_f64 v[124:125], v[24:25], v[124:125]
	s_waitcnt vmcnt(0)
	v_add_f64 v[126:127], v[126:127], -v[128:129]
	buffer_load_dword v128, off, s[64:67], 0 offset:536 ; 4-byte Folded Reload
	buffer_load_dword v129, off, s[64:67], 0 offset:540 ; 4-byte Folded Reload
	v_add_f64 v[124:125], v[126:127], v[124:125]
	v_mul_f64 v[126:127], v[132:133], s[4:5]
	v_add_f64 v[118:119], v[118:119], v[124:125]
	v_mul_f64 v[124:125], v[144:145], s[10:11]
	s_waitcnt vmcnt(0)
	v_add_f64 v[126:127], v[126:127], -v[128:129]
	buffer_load_dword v128, off, s[64:67], 0 offset:552 ; 4-byte Folded Reload
	buffer_load_dword v129, off, s[64:67], 0 offset:556 ; 4-byte Folded Reload
	v_add_f64 v[118:119], v[126:127], v[118:119]
	v_mul_f64 v[126:127], v[122:123], s[34:35]
	s_waitcnt vmcnt(0)
	v_add_f64 v[124:125], v[124:125], -v[128:129]
	buffer_load_dword v128, off, s[64:67], 0 offset:472 ; 4-byte Folded Reload
	buffer_load_dword v129, off, s[64:67], 0 offset:476 ; 4-byte Folded Reload
	;; [unrolled: 1-line block ×6, first 2 shown]
	v_add_f64 v[118:119], v[124:125], v[118:119]
	v_mul_f64 v[124:125], v[104:105], s[4:5]
	v_add_f64 v[110:111], v[110:111], v[118:119]
	v_mul_f64 v[118:119], v[104:105], s[6:7]
	v_mul_f64 v[104:105], v[104:105], s[10:11]
	s_waitcnt vmcnt(4)
	v_add_f64 v[126:127], v[128:129], v[126:127]
	v_mul_f64 v[128:129], v[106:107], s[10:11]
	s_waitcnt vmcnt(2)
	v_add_f64 v[128:129], v[130:131], v[128:129]
	v_mul_f64 v[130:131], v[116:117], s[26:27]
	v_add_f64 v[128:129], v[26:27], v[128:129]
	s_waitcnt vmcnt(0)
	v_add_f64 v[130:131], v[134:135], v[130:131]
	buffer_load_dword v134, off, s[64:67], 0 offset:480 ; 4-byte Folded Reload
	buffer_load_dword v135, off, s[64:67], 0 offset:484 ; 4-byte Folded Reload
	;; [unrolled: 1-line block ×30, first 2 shown]
	v_add_f64 v[128:129], v[130:131], v[128:129]
	v_mul_f64 v[130:131], v[136:137], s[20:21]
	buffer_load_dword v185, off, s[64:67], 0 offset:368 ; 4-byte Folded Reload
	buffer_load_dword v186, off, s[64:67], 0 offset:372 ; 4-byte Folded Reload
	;; [unrolled: 1-line block ×6, first 2 shown]
	v_add_f64 v[126:127], v[126:127], v[128:129]
	v_mul_f64 v[128:129], v[146:147], s[6:7]
	s_waitcnt vmcnt(34)
	v_add_f64 v[130:131], v[134:135], v[130:131]
	v_mul_f64 v[134:135], v[160:161], s[26:27]
	s_waitcnt vmcnt(30)
	v_add_f64 v[128:129], v[140:141], v[128:129]
	v_mul_f64 v[140:141], v[106:107], s[4:5]
	v_mul_f64 v[106:107], v[106:107], s[6:7]
	s_waitcnt vmcnt(24)
	v_add_f64 v[152:153], v[152:153], -v[156:157]
	v_mul_f64 v[156:157], v[120:121], s[10:11]
	s_waitcnt vmcnt(20)
	v_add_f64 v[104:105], v[104:105], -v[164:165]
	v_add_f64 v[126:127], v[130:131], v[126:127]
	v_add_f64 v[134:135], v[134:135], -v[138:139]
	v_mul_f64 v[138:139], v[150:151], s[4:5]
	v_mul_f64 v[164:165], v[120:121], s[26:27]
	s_waitcnt vmcnt(16)
	v_add_f64 v[106:107], v[168:169], v[106:107]
	v_mul_f64 v[168:169], v[136:137], s[16:17]
	v_mul_f64 v[136:137], v[136:137], s[34:35]
	;; [unrolled: 1-line block ×3, first 2 shown]
	v_add_f64 v[126:127], v[128:129], v[126:127]
	v_add_f64 v[110:111], v[134:135], v[110:111]
	;; [unrolled: 1-line block ×3, first 2 shown]
	v_mul_f64 v[142:143], v[162:163], s[16:17]
	v_mul_f64 v[134:135], v[132:133], s[20:21]
	v_add_f64 v[106:107], v[26:27], v[106:107]
	s_waitcnt vmcnt(8)
	v_add_f64 v[136:137], v[176:177], v[136:137]
	v_mul_f64 v[128:129], v[114:115], s[6:7]
	v_add_f64 v[104:105], v[24:25], v[104:105]
	v_add_f64 v[120:121], v[120:121], -v[170:171]
	v_add_f64 v[126:127], v[138:139], v[126:127]
	v_add_f64 v[142:143], v[154:155], v[142:143]
	v_mul_f64 v[154:155], v[116:117], s[6:7]
	v_mul_f64 v[116:117], v[116:117], s[16:17]
	v_add_f64 v[134:135], v[134:135], -v[158:159]
	v_mul_f64 v[158:159], v[122:123], s[10:11]
	v_mul_f64 v[122:123], v[122:123], s[26:27]
	v_mul_f64 v[138:139], v[114:115], s[16:17]
	v_mul_f64 v[114:115], v[114:115], s[26:27]
	v_mul_f64 v[130:131], v[178:179], s[6:7]
	v_mul_f64 v[176:177], v[162:163], s[22:23]
	v_add_f64 v[116:117], v[172:173], v[116:117]
	v_mul_f64 v[172:173], v[146:147], s[20:21]
	v_mul_f64 v[146:147], v[146:147], s[22:23]
	v_add_f64 v[122:123], v[174:175], v[122:123]
	v_mul_f64 v[174:175], v[150:151], s[26:27]
	v_add_f64 v[114:115], v[114:115], -v[166:167]
	v_add_f64 v[130:131], v[130:131], -v[4:5]
	v_mul_f64 v[150:151], v[150:151], s[20:21]
	v_add_f64 v[106:107], v[116:117], v[106:107]
	v_mul_f64 v[116:117], v[148:149], s[20:21]
	s_waitcnt vmcnt(6)
	v_add_f64 v[146:147], v[183:184], v[146:147]
	v_mul_f64 v[162:163], v[162:163], s[10:11]
	v_mul_f64 v[166:167], v[132:133], s[16:17]
	v_add_f64 v[104:105], v[114:115], v[104:105]
	v_mul_f64 v[114:115], v[148:149], s[26:27]
	v_mul_f64 v[148:149], v[148:149], s[4:5]
	v_add_f64 v[106:107], v[122:123], v[106:107]
	s_waitcnt vmcnt(4)
	v_add_f64 v[150:151], v[185:186], v[150:151]
	v_mul_f64 v[132:133], v[132:133], s[34:35]
	v_mul_f64 v[170:171], v[144:145], s[20:21]
	;; [unrolled: 1-line block ×3, first 2 shown]
	v_add_f64 v[104:105], v[120:121], v[104:105]
	v_mul_f64 v[122:123], v[160:161], s[10:11]
	s_waitcnt vmcnt(0)
	v_add_f64 v[38:39], v[148:149], -v[38:39]
	v_add_f64 v[106:107], v[136:137], v[106:107]
	v_mul_f64 v[136:137], v[178:179], s[4:5]
	v_mul_f64 v[120:121], v[160:161], s[22:23]
	;; [unrolled: 1-line block ×4, first 2 shown]
	v_add_f64 v[104:105], v[134:135], v[104:105]
	v_mul_f64 v[134:135], v[178:179], s[34:35]
	v_mul_f64 v[178:179], v[178:179], s[22:23]
	v_add_f64 v[88:89], v[146:147], v[106:107]
	buffer_load_dword v106, off, s[64:67], 0 offset:360 ; 4-byte Folded Reload
	buffer_load_dword v107, off, s[64:67], 0 offset:364 ; 4-byte Folded Reload
	;; [unrolled: 1-line block ×4, first 2 shown]
	v_mul_f64 v[185:186], v[181:182], s[4:5]
	v_mul_f64 v[181:182], v[181:182], s[22:23]
	v_add_f64 v[92:93], v[152:153], v[104:105]
	v_add_f64 v[104:105], v[142:143], v[126:127]
	;; [unrolled: 1-line block ×5, first 2 shown]
	s_waitcnt vmcnt(2)
	v_add_f64 v[106:107], v[106:107], v[162:163]
	s_waitcnt vmcnt(0)
	v_add_f64 v[112:113], v[178:179], -v[28:29]
	buffer_load_dword v28, off, s[64:67], 0 offset:392 ; 4-byte Folded Reload
	buffer_load_dword v29, off, s[64:67], 0 offset:396 ; 4-byte Folded Reload
	;; [unrolled: 1-line block ×6, first 2 shown]
	v_add_f64 v[88:89], v[106:107], v[88:89]
	s_waitcnt vmcnt(4)
	v_add_f64 v[28:29], v[160:161], -v[28:29]
	s_waitcnt vmcnt(2)
	v_add_f64 v[38:39], v[38:39], v[185:186]
	s_waitcnt vmcnt(0)
	v_add_f64 v[92:93], v[4:5], v[140:141]
	buffer_load_dword v4, off, s[64:67], 0 offset:680 ; 4-byte Folded Reload
	buffer_load_dword v5, off, s[64:67], 0 offset:684 ; 4-byte Folded Reload
	;; [unrolled: 1-line block ×6, first 2 shown]
	v_add_f64 v[26:27], v[26:27], v[92:93]
	s_waitcnt vmcnt(4)
	v_add_f64 v[32:33], v[124:125], -v[4:5]
	buffer_load_dword v4, off, s[64:67], 0 offset:704 ; 4-byte Folded Reload
	buffer_load_dword v5, off, s[64:67], 0 offset:708 ; 4-byte Folded Reload
	s_waitcnt vmcnt(4)
	v_add_f64 v[34:35], v[118:119], -v[34:35]
	s_waitcnt vmcnt(2)
	v_add_f64 v[106:107], v[138:139], -v[106:107]
	v_add_f64 v[32:33], v[24:25], v[32:33]
	v_add_f64 v[24:25], v[24:25], v[34:35]
	;; [unrolled: 1-line block ×3, first 2 shown]
	s_waitcnt vmcnt(0)
	v_add_f64 v[118:119], v[4:5], v[154:155]
	buffer_load_dword v4, off, s[64:67], 0 offset:688 ; 4-byte Folded Reload
	buffer_load_dword v5, off, s[64:67], 0 offset:692 ; 4-byte Folded Reload
	v_add_f64 v[26:27], v[118:119], v[26:27]
	s_waitcnt vmcnt(0)
	v_add_f64 v[92:93], v[128:129], -v[4:5]
	buffer_load_dword v4, off, s[64:67], 0 offset:264 ; 4-byte Folded Reload
	buffer_load_dword v5, off, s[64:67], 0 offset:268 ; 4-byte Folded Reload
	v_add_f64 v[32:33], v[92:93], v[32:33]
	v_add_f64 v[92:93], v[130:131], v[110:111]
	s_waitcnt vmcnt(0)
	v_add_f64 v[34:35], v[164:165], -v[4:5]
	buffer_load_dword v4, off, s[64:67], 0 offset:56 ; 4-byte Folded Reload
	buffer_load_dword v5, off, s[64:67], 0 offset:60 ; 4-byte Folded Reload
	v_add_f64 v[24:25], v[34:35], v[24:25]
	s_waitcnt vmcnt(0)
	v_add_f64 v[40:41], v[4:5], v[158:159]
	buffer_load_dword v4, off, s[64:67], 0 offset:40 ; 4-byte Folded Reload
	buffer_load_dword v5, off, s[64:67], 0 offset:44 ; 4-byte Folded Reload
	v_add_f64 v[26:27], v[40:41], v[26:27]
	s_waitcnt vmcnt(0)
	v_add_f64 v[42:43], v[156:157], -v[4:5]
	buffer_load_dword v4, off, s[64:67], 0 offset:280 ; 4-byte Folded Reload
	buffer_load_dword v5, off, s[64:67], 0 offset:284 ; 4-byte Folded Reload
	v_add_f64 v[32:33], v[42:43], v[32:33]
	s_waitcnt vmcnt(0)
	v_add_f64 v[44:45], v[132:133], -v[4:5]
	buffer_load_dword v4, off, s[64:67], 0 offset:88 ; 4-byte Folded Reload
	buffer_load_dword v5, off, s[64:67], 0 offset:92 ; 4-byte Folded Reload
	v_add_f64 v[24:25], v[44:45], v[24:25]
	s_waitcnt vmcnt(0)
	v_add_f64 v[46:47], v[4:5], v[168:169]
	buffer_load_dword v4, off, s[64:67], 0 offset:72 ; 4-byte Folded Reload
	buffer_load_dword v5, off, s[64:67], 0 offset:76 ; 4-byte Folded Reload
	v_add_f64 v[26:27], v[46:47], v[26:27]
	s_waitcnt vmcnt(0)
	v_add_f64 v[40:41], v[166:167], -v[4:5]
	buffer_load_dword v4, off, s[64:67], 0 offset:288 ; 4-byte Folded Reload
	buffer_load_dword v5, off, s[64:67], 0 offset:292 ; 4-byte Folded Reload
	;; [unrolled: 15-line block ×4, first 2 shown]
	v_add_f64 v[32:33], v[42:43], v[32:33]
	s_waitcnt vmcnt(0)
	v_add_f64 v[34:35], v[122:123], -v[4:5]
	buffer_load_dword v4, off, s[64:67], 0 offset:184 ; 4-byte Folded Reload
	buffer_load_dword v5, off, s[64:67], 0 offset:188 ; 4-byte Folded Reload
	v_add_f64 v[24:25], v[34:35], v[24:25]
	s_waitcnt vmcnt(0)
	v_add_f64 v[46:47], v[4:5], v[176:177]
	buffer_load_dword v4, off, s[64:67], 0 offset:168 ; 4-byte Folded Reload
	buffer_load_dword v5, off, s[64:67], 0 offset:172 ; 4-byte Folded Reload
	v_add_f64 v[46:47], v[46:47], v[26:27]
	v_add_f64 v[26:27], v[36:37], v[104:105]
	v_add_f64 v[36:37], v[2:3], v[68:69]
	s_waitcnt vmcnt(0)
	v_add_f64 v[44:45], v[120:121], -v[4:5]
	buffer_load_dword v4, off, s[64:67], 0 offset:312 ; 4-byte Folded Reload
	buffer_load_dword v5, off, s[64:67], 0 offset:316 ; 4-byte Folded Reload
	v_add_f64 v[32:33], v[44:45], v[32:33]
	v_add_f64 v[44:45], v[28:29], v[30:31]
	;; [unrolled: 1-line block ×6, first 2 shown]
	v_lshlrev_b32_e32 v0, 4, v18
	s_waitcnt vmcnt(0)
	v_add_f64 v[40:41], v[136:137], -v[4:5]
	buffer_load_dword v4, off, s[64:67], 0 offset:216 ; 4-byte Folded Reload
	buffer_load_dword v5, off, s[64:67], 0 offset:220 ; 4-byte Folded Reload
	v_add_f64 v[28:29], v[40:41], v[24:25]
	v_add_f64 v[24:25], v[112:113], v[44:45]
	s_waitcnt vmcnt(0)
	v_add_f64 v[42:43], v[4:5], v[183:184]
	buffer_load_dword v4, off, s[64:67], 0 offset:200 ; 4-byte Folded Reload
	buffer_load_dword v5, off, s[64:67], 0 offset:204 ; 4-byte Folded Reload
	v_add_f64 v[34:35], v[42:43], v[46:47]
	s_waitcnt vmcnt(0)
	v_add_f64 v[48:49], v[134:135], -v[4:5]
	v_add_f64 v[32:33], v[48:49], v[32:33]
	ds_write_b128 v0, v[36:39]
	ds_write_b128 v0, v[32:35] offset:16
	ds_write_b128 v0, v[28:31] offset:32
	;; [unrolled: 1-line block ×10, first 2 shown]
	buffer_load_dword v1, off, s[64:67], 0 offset:16 ; 4-byte Folded Reload
	buffer_load_dword v2, off, s[64:67], 0 offset:20 ; 4-byte Folded Reload
	;; [unrolled: 1-line block ×4, first 2 shown]
	s_waitcnt vmcnt(0)
	ds_write_b128 v0, v[1:4] offset:176
	buffer_load_dword v1, off, s[64:67], 0  ; 4-byte Folded Reload
	buffer_load_dword v2, off, s[64:67], 0 offset:4 ; 4-byte Folded Reload
	buffer_load_dword v3, off, s[64:67], 0 offset:8 ; 4-byte Folded Reload
	;; [unrolled: 1-line block ×3, first 2 shown]
	s_waitcnt vmcnt(0)
	ds_write_b128 v0, v[1:4] offset:192
	ds_write_b128 v0, v[19:22] offset:208
	;; [unrolled: 1-line block ×5, first 2 shown]
.LBB0_7:
	s_or_b64 exec, exec, s[36:37]
	s_load_dwordx4 s[4:7], s[2:3], 0x0
	s_movk_i32 s2, 0xf1
	v_mul_lo_u16_sdwa v0, v180, s2 dst_sel:DWORD dst_unused:UNUSED_PAD src0_sel:BYTE_0 src1_sel:DWORD
	v_lshrrev_b16_e32 v4, 12, v0
	v_mul_lo_u16_e32 v0, 17, v4
	v_sub_u16_e32 v0, v180, v0
	v_and_b32_e32 v5, 0xff, v0
	v_mov_b32_e32 v0, s8
	s_movk_i32 s2, 0x90
	v_mov_b32_e32 v1, s9
	v_mad_u64_u32 v[0:1], s[2:3], v5, s2, v[0:1]
	s_waitcnt lgkmcnt(0)
	s_barrier
	global_load_dwordx4 v[48:51], v[0:1], off
	global_load_dwordx4 v[40:43], v[0:1], off offset:16
	global_load_dwordx4 v[28:31], v[0:1], off offset:32
	;; [unrolled: 1-line block ×8, first 2 shown]
	ds_read_b128 v[32:35], v255
	ds_read_b128 v[36:39], v255 offset:2992
	ds_read_b128 v[68:71], v255 offset:5984
	;; [unrolled: 1-line block ×9, first 2 shown]
	s_mov_b32 s2, 0x134454ff
	s_mov_b32 s3, 0x3fee6f0e
	;; [unrolled: 1-line block ×12, first 2 shown]
	s_waitcnt vmcnt(0) lgkmcnt(0)
	s_barrier
	v_mul_f64 v[0:1], v[38:39], v[50:51]
	v_mul_f64 v[2:3], v[36:37], v[50:51]
	;; [unrolled: 1-line block ×18, first 2 shown]
	v_fma_f64 v[0:1], v[36:37], v[48:49], -v[0:1]
	v_fma_f64 v[2:3], v[38:39], v[48:49], v[2:3]
	v_fma_f64 v[36:37], v[68:69], v[40:41], -v[104:105]
	v_fma_f64 v[38:39], v[70:71], v[40:41], v[106:107]
	;; [unrolled: 2-line block ×9, first 2 shown]
	v_add_f64 v[96:97], v[32:33], v[36:37]
	v_add_f64 v[98:99], v[72:73], v[80:81]
	v_add_f64 v[106:107], v[74:75], -v[82:83]
	v_add_f64 v[108:109], v[36:37], -v[72:73]
	v_add_f64 v[112:113], v[36:37], v[90:91]
	v_add_f64 v[104:105], v[38:39], -v[84:85]
	v_add_f64 v[110:111], v[90:91], -v[80:81]
	;; [unrolled: 1-line block ×4, first 2 shown]
	v_add_f64 v[118:119], v[34:35], v[38:39]
	v_add_f64 v[120:121], v[74:75], v[82:83]
	v_add_f64 v[122:123], v[72:73], -v[80:81]
	v_add_f64 v[128:129], v[38:39], v[84:85]
	v_add_f64 v[134:135], v[76:77], v[86:87]
	;; [unrolled: 1-line block ×3, first 2 shown]
	v_fma_f64 v[96:97], v[98:99], -0.5, v[32:33]
	v_fma_f64 v[32:33], v[112:113], -0.5, v[32:33]
	v_add_f64 v[124:125], v[38:39], -v[74:75]
	v_add_f64 v[126:127], v[84:85], -v[82:83]
	;; [unrolled: 1-line block ×4, first 2 shown]
	v_add_f64 v[98:99], v[108:109], v[110:111]
	v_add_f64 v[108:109], v[114:115], v[116:117]
	;; [unrolled: 1-line block ×3, first 2 shown]
	v_fma_f64 v[110:111], v[120:121], -0.5, v[34:35]
	v_fma_f64 v[34:35], v[128:129], -0.5, v[34:35]
	;; [unrolled: 1-line block ×3, first 2 shown]
	v_add_f64 v[72:73], v[72:73], v[80:81]
	v_fma_f64 v[80:81], v[104:105], s[2:3], v[96:97]
	v_fma_f64 v[96:97], v[104:105], s[18:19], v[96:97]
	;; [unrolled: 1-line block ×4, first 2 shown]
	v_add_f64 v[36:37], v[36:37], -v[90:91]
	v_add_f64 v[130:131], v[82:83], -v[84:85]
	v_add_f64 v[132:133], v[0:1], v[68:69]
	v_add_f64 v[138:139], v[78:79], -v[88:89]
	v_add_f64 v[140:141], v[68:69], -v[76:77]
	;; [unrolled: 1-line block ×3, first 2 shown]
	v_add_f64 v[112:113], v[124:125], v[126:127]
	v_fma_f64 v[120:121], v[122:123], s[2:3], v[34:35]
	v_fma_f64 v[34:35], v[122:123], s[18:19], v[34:35]
	;; [unrolled: 1-line block ×7, first 2 shown]
	v_add_f64 v[114:115], v[132:133], v[76:77]
	v_add_f64 v[72:73], v[72:73], v[90:91]
	;; [unrolled: 1-line block ×3, first 2 shown]
	v_fma_f64 v[34:35], v[36:37], s[10:11], v[34:35]
	v_fma_f64 v[80:81], v[98:99], s[16:17], v[80:81]
	;; [unrolled: 1-line block ×7, first 2 shown]
	v_add_f64 v[106:107], v[140:141], v[142:143]
	v_add_f64 v[108:109], v[78:79], v[88:89]
	v_add_f64 v[144:145], v[68:69], v[92:93]
	v_add_f64 v[74:75], v[74:75], v[82:83]
	v_fma_f64 v[82:83], v[36:37], s[18:19], v[110:111]
	v_fma_f64 v[110:111], v[36:37], s[2:3], v[110:111]
	v_add_f64 v[36:37], v[114:115], v[86:87]
	v_fma_f64 v[98:99], v[38:39], s[16:17], v[98:99]
	v_fma_f64 v[34:35], v[38:39], s[16:17], v[34:35]
	v_add_f64 v[38:39], v[70:71], v[94:95]
	v_fma_f64 v[114:115], v[106:107], s[16:17], v[104:105]
	v_fma_f64 v[104:105], v[108:109], -0.5, v[2:3]
	v_add_f64 v[108:109], v[68:69], -v[92:93]
	v_fma_f64 v[82:83], v[122:123], s[20:21], v[82:83]
	v_add_f64 v[74:75], v[74:75], v[84:85]
	v_fma_f64 v[84:85], v[122:123], s[10:11], v[110:111]
	v_fma_f64 v[0:1], v[144:145], -0.5, v[0:1]
	v_fma_f64 v[110:111], v[136:137], s[18:19], v[116:117]
	v_add_f64 v[36:37], v[36:37], v[92:93]
	v_add_f64 v[116:117], v[2:3], v[70:71]
	v_add_f64 v[118:119], v[76:77], -v[86:87]
	v_fma_f64 v[2:3], v[38:39], -0.5, v[2:3]
	v_add_f64 v[38:39], v[76:77], -v[68:69]
	v_add_f64 v[68:69], v[86:87], -v[92:93]
	v_fma_f64 v[76:77], v[108:109], s[18:19], v[104:105]
	v_add_f64 v[86:87], v[70:71], -v[78:79]
	v_add_f64 v[92:93], v[94:95], -v[88:89]
	v_fma_f64 v[82:83], v[112:113], s[16:17], v[82:83]
	v_fma_f64 v[84:85], v[112:113], s[16:17], v[84:85]
	;; [unrolled: 1-line block ×4, first 2 shown]
	v_add_f64 v[116:117], v[116:117], v[78:79]
	v_fma_f64 v[120:121], v[118:119], s[2:3], v[2:3]
	v_add_f64 v[70:71], v[78:79], -v[70:71]
	v_add_f64 v[78:79], v[88:89], -v[94:95]
	v_fma_f64 v[76:77], v[118:119], s[20:21], v[76:77]
	v_fma_f64 v[104:105], v[108:109], s[2:3], v[104:105]
	v_add_f64 v[86:87], v[86:87], v[92:93]
	v_fma_f64 v[2:3], v[118:119], s[18:19], v[2:3]
	v_fma_f64 v[110:111], v[138:139], s[20:21], v[110:111]
	;; [unrolled: 1-line block ×3, first 2 shown]
	v_add_f64 v[38:39], v[38:39], v[68:69]
	v_fma_f64 v[0:1], v[136:137], s[20:21], v[0:1]
	v_fma_f64 v[68:69], v[108:109], s[20:21], v[120:121]
	v_add_f64 v[70:71], v[70:71], v[78:79]
	v_add_f64 v[78:79], v[116:117], v[88:89]
	v_fma_f64 v[88:89], v[118:119], s[10:11], v[104:105]
	v_fma_f64 v[76:77], v[86:87], s[16:17], v[76:77]
	;; [unrolled: 1-line block ×7, first 2 shown]
	v_add_f64 v[68:69], v[78:79], v[94:95]
	v_fma_f64 v[78:79], v[86:87], s[16:17], v[88:89]
	v_mul_f64 v[86:87], v[76:77], s[10:11]
	v_fma_f64 v[2:3], v[70:71], s[16:17], v[2:3]
	v_mul_f64 v[94:95], v[92:93], s[22:23]
	v_mul_f64 v[110:111], v[114:115], s[20:21]
	;; [unrolled: 1-line block ×6, first 2 shown]
	v_fma_f64 v[86:87], v[114:115], s[22:23], v[86:87]
	v_mul_f64 v[114:115], v[2:3], s[16:17]
	v_fma_f64 v[78:79], v[78:79], s[10:11], -v[94:95]
	v_fma_f64 v[76:77], v[76:77], s[22:23], v[110:111]
	v_fma_f64 v[2:3], v[2:3], s[2:3], -v[88:89]
	v_fma_f64 v[70:71], v[106:107], s[16:17], v[70:71]
	v_fma_f64 v[38:39], v[38:39], s[16:17], v[112:113]
	v_fma_f64 v[88:89], v[92:93], s[20:21], -v[116:117]
	v_add_f64 v[104:105], v[72:73], v[36:37]
	v_fma_f64 v[0:1], v[0:1], s[18:19], -v[114:115]
	v_add_f64 v[108:109], v[80:81], v[86:87]
	v_add_f64 v[120:121], v[90:91], v[78:79]
	;; [unrolled: 1-line block ×9, first 2 shown]
	v_add_f64 v[124:125], v[72:73], -v[36:37]
	v_add_f64 v[128:129], v[80:81], -v[86:87]
	;; [unrolled: 1-line block ×10, first 2 shown]
	s_movk_i32 s2, 0xaa
	v_mul_u32_u24_e32 v0, 0xaa, v4
	v_add_lshl_u32 v245, v0, v5, 4
	v_cmp_gt_u16_e64 s[2:3], s2, v180
	ds_write_b128 v245, v[104:107]
	ds_write_b128 v245, v[108:111] offset:272
	ds_write_b128 v245, v[112:115] offset:544
	;; [unrolled: 1-line block ×9, first 2 shown]
	s_waitcnt lgkmcnt(0)
	s_barrier
	s_and_saveexec_b64 s[10:11], s[2:3]
	s_cbranch_execz .LBB0_9
; %bb.8:
	ds_read_b128 v[104:107], v255
	ds_read_b128 v[108:111], v255 offset:2720
	ds_read_b128 v[112:115], v255 offset:5440
	;; [unrolled: 1-line block ×10, first 2 shown]
.LBB0_9:
	s_or_b64 exec, exec, s[10:11]
	v_add_u32_e32 v0, 0xffffff56, v180
	v_cndmask_b32_e64 v0, v0, v180, s[2:3]
	v_mul_hi_i32_i24_e32 v1, 0xa0, v0
	v_mul_i32_i24_e32 v0, 0xa0, v0
	v_mov_b32_e32 v2, s9
	v_add_co_u32_e32 v0, vcc, s8, v0
	v_addc_co_u32_e32 v1, vcc, v2, v1, vcc
	global_load_dwordx4 v[74:77], v[0:1], off offset:2448
	global_load_dwordx4 v[82:85], v[0:1], off offset:2464
	;; [unrolled: 1-line block ×10, first 2 shown]
	s_mov_b32 s26, 0xf8bb580b
	s_mov_b32 s27, 0xbfe14ced
	s_mov_b32 s18, 0x8764f0ba
	s_mov_b32 s20, 0x43842ef
	s_mov_b32 s24, 0xbb3a28a1
	s_mov_b32 s30, 0xfd768dbf
	s_mov_b32 s19, 0x3feaeb8c
	s_mov_b32 s11, 0xbfed1bb4
	s_mov_b32 s10, 0x8eee2c13
	s_mov_b32 s21, 0xbfefac9e
	s_mov_b32 s25, 0xbfe82f19
	s_mov_b32 s31, 0xbfd207e7
	s_mov_b32 s8, 0xd9c712b6
	s_mov_b32 s16, 0x640f44db
	s_mov_b32 s22, 0x7f775887
	s_mov_b32 s28, 0x9bcd5057
	s_mov_b32 s9, 0x3fda9628
	s_mov_b32 s17, 0xbfc2375f
	s_mov_b32 s23, 0xbfe4f49e
	s_mov_b32 s29, 0xbfeeb42a
	s_mov_b32 s37, 0x3fd207e7
	s_mov_b32 s36, s30
	s_mov_b32 s39, 0x3fefac9e
	s_mov_b32 s38, s20
	s_mov_b32 s35, 0x3fe14ced
	s_mov_b32 s34, s26
	s_waitcnt vmcnt(9) lgkmcnt(9)
	v_mul_f64 v[0:1], v[110:111], v[76:77]
	s_waitcnt vmcnt(8) lgkmcnt(8)
	v_mul_f64 v[32:33], v[114:115], v[84:85]
	;; [unrolled: 2-line block ×6, first 2 shown]
	v_mul_f64 v[2:3], v[108:109], v[76:77]
	v_mul_f64 v[34:35], v[112:113], v[84:85]
	;; [unrolled: 1-line block ×6, first 2 shown]
	v_fma_f64 v[0:1], v[108:109], v[74:75], -v[0:1]
	v_fma_f64 v[32:33], v[112:113], v[82:83], -v[32:33]
	;; [unrolled: 1-line block ×5, first 2 shown]
	buffer_store_dword v36, off, s[64:67], 0 offset:56 ; 4-byte Folded Spill
	s_nop 0
	buffer_store_dword v37, off, s[64:67], 0 offset:60 ; 4-byte Folded Spill
	buffer_store_dword v38, off, s[64:67], 0 offset:64 ; 4-byte Folded Spill
	;; [unrolled: 1-line block ×3, first 2 shown]
	v_fma_f64 v[120:121], v[128:129], v[23:24], -v[156:157]
	buffer_store_dword v23, off, s[64:67], 0 offset:40 ; 4-byte Folded Spill
	s_nop 0
	buffer_store_dword v24, off, s[64:67], 0 offset:44 ; 4-byte Folded Spill
	buffer_store_dword v25, off, s[64:67], 0 offset:48 ; 4-byte Folded Spill
	buffer_store_dword v26, off, s[64:67], 0 offset:52 ; 4-byte Folded Spill
	s_waitcnt vmcnt(11) lgkmcnt(3)
	v_mul_f64 v[160:161], v[134:135], v[252:253]
	s_waitcnt vmcnt(10) lgkmcnt(2)
	v_mul_f64 v[164:165], v[138:139], v[96:97]
	;; [unrolled: 2-line block ×3, first 2 shown]
	v_mul_f64 v[162:163], v[132:133], v[252:253]
	v_mul_f64 v[166:167], v[136:137], v[96:97]
	;; [unrolled: 1-line block ×3, first 2 shown]
	v_fma_f64 v[2:3], v[110:111], v[74:75], v[2:3]
	v_fma_f64 v[34:35], v[114:115], v[82:83], v[34:35]
	v_fma_f64 v[124:125], v[132:133], v[250:251], -v[160:161]
	v_fma_f64 v[128:129], v[136:137], v[94:95], -v[164:165]
	;; [unrolled: 1-line block ×3, first 2 shown]
	v_add_f64 v[136:137], v[104:105], v[0:1]
	v_fma_f64 v[110:111], v[118:119], v[68:69], v[146:147]
	v_fma_f64 v[114:115], v[122:123], v[78:79], v[150:151]
	s_waitcnt vmcnt(8) lgkmcnt(0)
	v_mul_f64 v[172:173], v[102:103], v[92:93]
	v_mul_f64 v[174:175], v[100:101], v[92:93]
	v_add_f64 v[144:145], v[32:33], v[132:133]
	v_add_f64 v[148:149], v[32:33], -v[132:133]
	v_add_f64 v[32:33], v[136:137], v[32:33]
	v_fma_f64 v[100:101], v[100:101], v[90:91], -v[172:173]
	v_fma_f64 v[102:103], v[102:103], v[90:91], v[174:175]
	v_add_f64 v[32:33], v[32:33], v[108:109]
	v_add_f64 v[140:141], v[0:1], v[100:101]
	v_add_f64 v[0:1], v[0:1], -v[100:101]
	v_add_f64 v[32:33], v[32:33], v[112:113]
	v_add_f64 v[32:33], v[32:33], v[116:117]
	;; [unrolled: 1-line block ×5, first 2 shown]
	v_fma_f64 v[118:119], v[126:127], v[36:37], v[154:155]
	v_fma_f64 v[126:127], v[134:135], v[250:251], v[162:163]
	;; [unrolled: 1-line block ×5, first 2 shown]
	v_add_f64 v[138:139], v[106:107], v[2:3]
	v_add_f64 v[142:143], v[2:3], v[102:103]
	v_add_f64 v[2:3], v[2:3], -v[102:103]
	v_mul_f64 v[154:155], v[0:1], s[10:11]
	v_mul_f64 v[158:159], v[0:1], s[20:21]
	;; [unrolled: 1-line block ×4, first 2 shown]
	v_add_f64 v[146:147], v[34:35], v[134:135]
	v_add_f64 v[150:151], v[34:35], -v[134:135]
	v_add_f64 v[34:35], v[138:139], v[34:35]
	v_mul_f64 v[138:139], v[0:1], s[26:27]
	v_mul_f64 v[136:137], v[2:3], s[26:27]
	v_mul_f64 v[0:1], v[0:1], s[30:31]
	v_mul_f64 v[152:153], v[2:3], s[10:11]
	v_mul_f64 v[156:157], v[2:3], s[20:21]
	v_mul_f64 v[160:161], v[2:3], s[24:25]
	v_mul_f64 v[2:3], v[2:3], s[30:31]
	v_add_f64 v[34:35], v[34:35], v[110:111]
	v_fma_f64 v[174:175], v[142:143], s[18:19], v[138:139]
	v_fma_f64 v[138:139], v[142:143], s[18:19], -v[138:139]
	v_mul_f64 v[164:165], v[150:151], s[10:11]
	v_fma_f64 v[172:173], v[140:141], s[18:19], -v[136:137]
	v_fma_f64 v[136:137], v[140:141], s[18:19], v[136:137]
	v_fma_f64 v[178:179], v[142:143], s[8:9], v[154:155]
	v_fma_f64 v[154:155], v[142:143], s[8:9], -v[154:155]
	v_add_f64 v[34:35], v[34:35], v[114:115]
	v_fma_f64 v[183:184], v[142:143], s[16:17], v[158:159]
	v_fma_f64 v[158:159], v[142:143], s[16:17], -v[158:159]
	v_fma_f64 v[187:188], v[142:143], s[22:23], v[162:163]
	v_fma_f64 v[162:163], v[142:143], s[22:23], -v[162:163]
	;; [unrolled: 2-line block ×3, first 2 shown]
	v_fma_f64 v[142:143], v[146:147], s[8:9], v[166:167]
	v_add_f64 v[34:35], v[34:35], v[118:119]
	v_fma_f64 v[166:167], v[146:147], s[8:9], -v[166:167]
	v_add_f64 v[138:139], v[106:107], v[138:139]
	v_add_f64 v[32:33], v[32:33], v[132:133]
	v_mul_f64 v[168:169], v[150:151], s[24:25]
	v_mul_f64 v[170:171], v[148:149], s[24:25]
	v_fma_f64 v[176:177], v[140:141], s[8:9], -v[152:153]
	v_fma_f64 v[152:153], v[140:141], s[8:9], v[152:153]
	v_add_f64 v[34:35], v[34:35], v[122:123]
	v_fma_f64 v[181:182], v[140:141], s[16:17], -v[156:157]
	v_fma_f64 v[156:157], v[140:141], s[16:17], v[156:157]
	v_fma_f64 v[185:186], v[140:141], s[22:23], -v[160:161]
	v_fma_f64 v[160:161], v[140:141], s[22:23], v[160:161]
	;; [unrolled: 2-line block ×3, first 2 shown]
	v_fma_f64 v[140:141], v[144:145], s[8:9], -v[164:165]
	v_add_f64 v[34:35], v[34:35], v[126:127]
	v_fma_f64 v[164:165], v[144:145], s[8:9], v[164:165]
	v_add_f64 v[174:175], v[106:107], v[174:175]
	v_add_f64 v[136:137], v[104:105], v[136:137]
	;; [unrolled: 1-line block ×3, first 2 shown]
	v_mul_f64 v[32:33], v[150:151], s[36:37]
	v_fma_f64 v[195:196], v[146:147], s[22:23], v[170:171]
	v_add_f64 v[172:173], v[104:105], v[172:173]
	v_add_f64 v[34:35], v[34:35], v[130:131]
	;; [unrolled: 1-line block ×11, first 2 shown]
	v_mul_f64 v[138:139], v[150:151], s[38:39]
	v_add_f64 v[185:186], v[104:105], v[185:186]
	v_add_f64 v[187:188], v[106:107], v[187:188]
	;; [unrolled: 1-line block ×8, first 2 shown]
	v_mul_f64 v[34:35], v[148:149], s[36:37]
	v_fma_f64 v[142:143], v[144:145], s[22:23], v[168:169]
	v_fma_f64 v[164:165], v[146:147], s[22:23], -v[170:171]
	v_fma_f64 v[166:167], v[144:145], s[28:29], -v[32:33]
	v_fma_f64 v[32:33], v[144:145], s[28:29], v[32:33]
	v_fma_f64 v[170:171], v[144:145], s[16:17], -v[138:139]
	v_fma_f64 v[193:194], v[144:145], s[22:23], -v[168:169]
	v_add_f64 v[176:177], v[104:105], v[176:177]
	v_add_f64 v[160:161], v[104:105], v[160:161]
	;; [unrolled: 1-line block ×5, first 2 shown]
	v_fma_f64 v[168:169], v[146:147], s[28:29], v[34:35]
	v_fma_f64 v[34:35], v[146:147], s[28:29], -v[34:35]
	v_mul_f64 v[172:173], v[148:149], s[38:39]
	v_add_f64 v[142:143], v[142:143], v[152:153]
	v_add_f64 v[152:153], v[164:165], v[154:155]
	v_add_f64 v[154:155], v[166:167], v[181:182]
	v_add_f64 v[32:33], v[32:33], v[156:157]
	v_add_f64 v[156:157], v[170:171], v[185:186]
	v_fma_f64 v[138:139], v[144:145], s[16:17], v[138:139]
	v_add_f64 v[166:167], v[110:111], -v[130:131]
	v_mul_f64 v[150:151], v[150:151], s[34:35]
	v_mul_f64 v[148:149], v[148:149], s[34:35]
	v_add_f64 v[170:171], v[108:109], -v[128:129]
	v_add_f64 v[164:165], v[168:169], v[183:184]
	v_add_f64 v[34:35], v[34:35], v[158:159]
	v_fma_f64 v[158:159], v[146:147], s[16:17], v[172:173]
	v_fma_f64 v[168:169], v[146:147], s[16:17], -v[172:173]
	v_add_f64 v[138:139], v[138:139], v[160:161]
	v_add_f64 v[108:109], v[108:109], v[128:129]
	v_mul_f64 v[128:129], v[166:167], s[20:21]
	v_fma_f64 v[160:161], v[144:145], s[18:19], -v[150:151]
	v_fma_f64 v[172:173], v[146:147], s[18:19], v[148:149]
	v_add_f64 v[110:111], v[110:111], v[130:131]
	v_mul_f64 v[130:131], v[170:171], s[20:21]
	v_add_f64 v[162:163], v[168:169], v[162:163]
	v_fma_f64 v[144:145], v[144:145], s[18:19], v[150:151]
	v_fma_f64 v[146:147], v[146:147], s[18:19], -v[148:149]
	v_fma_f64 v[148:149], v[108:109], s[16:17], -v[128:129]
	v_add_f64 v[150:151], v[160:161], v[189:190]
	v_add_f64 v[160:161], v[172:173], v[191:192]
	v_mul_f64 v[168:169], v[166:167], s[36:37]
	v_mul_f64 v[172:173], v[170:171], s[36:37]
	v_fma_f64 v[174:175], v[110:111], s[16:17], v[130:131]
	s_mov_b32 s11, 0x3fed1bb4
	v_add_f64 v[136:137], v[193:194], v[176:177]
	v_add_f64 v[140:141], v[195:196], v[178:179]
	;; [unrolled: 1-line block ×5, first 2 shown]
	v_fma_f64 v[128:129], v[108:109], s[16:17], v[128:129]
	v_fma_f64 v[130:131], v[110:111], s[16:17], -v[130:131]
	v_fma_f64 v[144:145], v[108:109], s[28:29], -v[168:169]
	v_fma_f64 v[146:147], v[110:111], s[28:29], v[172:173]
	v_add_f64 v[106:107], v[174:175], v[106:107]
	v_mul_f64 v[148:149], v[166:167], s[10:11]
	v_mul_f64 v[174:175], v[170:171], s[10:11]
	v_add_f64 v[158:159], v[158:159], v[187:188]
	v_add_f64 v[128:129], v[128:129], v[132:133]
	;; [unrolled: 1-line block ×5, first 2 shown]
	v_fma_f64 v[136:137], v[108:109], s[28:29], v[168:169]
	v_fma_f64 v[140:141], v[110:111], s[28:29], -v[172:173]
	v_fma_f64 v[144:145], v[108:109], s[8:9], -v[148:149]
	v_fma_f64 v[146:147], v[110:111], s[8:9], v[174:175]
	v_mul_f64 v[168:169], v[166:167], s[26:27]
	v_mul_f64 v[172:173], v[170:171], s[26:27]
	v_fma_f64 v[148:149], v[108:109], s[8:9], v[148:149]
	v_fma_f64 v[174:175], v[110:111], s[8:9], -v[174:175]
	v_add_f64 v[136:137], v[136:137], v[142:143]
	v_add_f64 v[140:141], v[140:141], v[152:153]
	;; [unrolled: 1-line block ×4, first 2 shown]
	v_fma_f64 v[146:147], v[108:109], s[18:19], -v[168:169]
	v_fma_f64 v[152:153], v[110:111], s[18:19], v[172:173]
	v_add_f64 v[32:33], v[148:149], v[32:33]
	v_mul_f64 v[148:149], v[166:167], s[24:25]
	v_mul_f64 v[154:155], v[170:171], s[24:25]
	v_fma_f64 v[164:165], v[108:109], s[18:19], v[168:169]
	v_fma_f64 v[166:167], v[110:111], s[18:19], -v[172:173]
	v_add_f64 v[34:35], v[174:175], v[34:35]
	v_add_f64 v[146:147], v[146:147], v[156:157]
	;; [unrolled: 1-line block ×3, first 2 shown]
	v_add_f64 v[156:157], v[114:115], -v[126:127]
	v_add_f64 v[158:159], v[112:113], -v[124:125]
	v_fma_f64 v[168:169], v[108:109], s[22:23], -v[148:149]
	v_fma_f64 v[170:171], v[110:111], s[22:23], v[154:155]
	v_add_f64 v[112:113], v[112:113], v[124:125]
	v_add_f64 v[114:115], v[114:115], v[126:127]
	v_fma_f64 v[108:109], v[108:109], s[22:23], v[148:149]
	v_fma_f64 v[110:111], v[110:111], s[22:23], -v[154:155]
	v_mul_f64 v[124:125], v[156:157], s[24:25]
	v_mul_f64 v[126:127], v[158:159], s[24:25]
	;; [unrolled: 1-line block ×4, first 2 shown]
	v_add_f64 v[138:139], v[164:165], v[138:139]
	v_add_f64 v[162:163], v[166:167], v[162:163]
	;; [unrolled: 1-line block ×4, first 2 shown]
	v_fma_f64 v[164:165], v[112:113], s[22:23], -v[124:125]
	v_fma_f64 v[166:167], v[114:115], s[22:23], v[126:127]
	v_fma_f64 v[124:125], v[112:113], s[22:23], v[124:125]
	v_fma_f64 v[126:127], v[114:115], s[22:23], -v[126:127]
	v_fma_f64 v[108:109], v[112:113], s[16:17], -v[148:149]
	v_fma_f64 v[110:111], v[114:115], s[16:17], v[154:155]
	v_add_f64 v[150:151], v[168:169], v[150:151]
	v_add_f64 v[160:161], v[170:171], v[160:161]
	;; [unrolled: 1-line block ×6, first 2 shown]
	v_mul_f64 v[128:129], v[156:157], s[26:27]
	v_mul_f64 v[130:131], v[158:159], s[26:27]
	v_add_f64 v[108:109], v[108:109], v[132:133]
	v_add_f64 v[110:111], v[110:111], v[134:135]
	v_mul_f64 v[132:133], v[156:157], s[30:31]
	v_mul_f64 v[134:135], v[158:159], s[30:31]
	v_fma_f64 v[148:149], v[112:113], s[16:17], v[148:149]
	v_fma_f64 v[154:155], v[114:115], s[16:17], -v[154:155]
	v_fma_f64 v[164:165], v[112:113], s[18:19], -v[128:129]
	v_fma_f64 v[166:167], v[114:115], s[18:19], v[130:131]
	v_fma_f64 v[128:129], v[112:113], s[18:19], v[128:129]
	v_fma_f64 v[130:131], v[114:115], s[18:19], -v[130:131]
	v_fma_f64 v[168:169], v[112:113], s[28:29], -v[132:133]
	v_fma_f64 v[170:171], v[114:115], s[28:29], v[134:135]
	v_add_f64 v[136:137], v[148:149], v[136:137]
	v_add_f64 v[140:141], v[154:155], v[140:141]
	v_add_f64 v[148:149], v[116:117], -v[120:121]
	v_mul_f64 v[154:155], v[158:159], s[10:11]
	v_add_f64 v[32:33], v[128:129], v[32:33]
	v_add_f64 v[34:35], v[130:131], v[34:35]
	;; [unrolled: 1-line block ×4, first 2 shown]
	v_add_f64 v[146:147], v[118:119], -v[122:123]
	v_mul_f64 v[152:153], v[156:157], s[10:11]
	v_fma_f64 v[132:133], v[112:113], s[28:29], v[132:133]
	v_add_f64 v[156:157], v[116:117], v[120:121]
	v_add_f64 v[158:159], v[118:119], v[122:123]
	v_mul_f64 v[118:119], v[148:149], s[30:31]
	v_fma_f64 v[122:123], v[114:115], s[8:9], v[154:155]
	v_fma_f64 v[134:135], v[114:115], s[28:29], -v[134:135]
	v_mul_f64 v[116:117], v[146:147], s[30:31]
	v_fma_f64 v[120:121], v[112:113], s[8:9], -v[152:153]
	v_fma_f64 v[112:113], v[112:113], s[8:9], v[152:153]
	v_add_f64 v[132:133], v[132:133], v[138:139]
	v_fma_f64 v[114:115], v[114:115], s[8:9], -v[154:155]
	v_fma_f64 v[152:153], v[158:159], s[28:29], v[118:119]
	v_add_f64 v[154:155], v[122:123], v[160:161]
	v_mul_f64 v[122:123], v[148:149], s[34:35]
	v_fma_f64 v[138:139], v[156:157], s[28:29], -v[116:117]
	v_add_f64 v[150:151], v[120:121], v[150:151]
	v_mul_f64 v[120:121], v[146:147], s[34:35]
	v_add_f64 v[2:3], v[112:113], v[2:3]
	v_fma_f64 v[112:113], v[156:157], s[28:29], v[116:117]
	v_mul_f64 v[160:161], v[146:147], s[24:25]
	v_add_f64 v[142:143], v[164:165], v[142:143]
	v_add_f64 v[134:135], v[134:135], v[162:163]
	;; [unrolled: 1-line block ×5, first 2 shown]
	v_fma_f64 v[114:115], v[158:159], s[28:29], -v[118:119]
	v_fma_f64 v[138:139], v[156:157], s[18:19], -v[120:121]
	v_fma_f64 v[152:153], v[158:159], s[18:19], v[122:123]
	v_mul_f64 v[162:163], v[148:149], s[24:25]
	v_fma_f64 v[120:121], v[156:157], s[18:19], v[120:121]
	v_fma_f64 v[122:123], v[158:159], s[18:19], -v[122:123]
	v_add_f64 v[116:117], v[112:113], v[124:125]
	v_fma_f64 v[112:113], v[156:157], s[22:23], -v[160:161]
	v_add_f64 v[144:145], v[166:167], v[144:145]
	v_add_f64 v[118:119], v[114:115], v[126:127]
	;; [unrolled: 1-line block ×3, first 2 shown]
	v_fma_f64 v[114:115], v[158:159], s[22:23], v[162:163]
	v_add_f64 v[120:121], v[120:121], v[136:137]
	v_add_f64 v[122:123], v[122:123], v[140:141]
	v_fma_f64 v[124:125], v[156:157], s[22:23], v[160:161]
	v_fma_f64 v[126:127], v[158:159], s[22:23], -v[162:163]
	v_mul_f64 v[136:137], v[146:147], s[10:11]
	v_mul_f64 v[138:139], v[148:149], s[10:11]
	v_add_f64 v[112:113], v[112:113], v[142:143]
	v_mul_f64 v[140:141], v[146:147], s[20:21]
	v_mul_f64 v[142:143], v[148:149], s[20:21]
	v_add_f64 v[114:115], v[114:115], v[144:145]
	v_add_f64 v[124:125], v[124:125], v[32:33]
	;; [unrolled: 1-line block ×3, first 2 shown]
	v_fma_f64 v[32:33], v[156:157], s[8:9], -v[136:137]
	v_fma_f64 v[34:35], v[158:159], s[8:9], v[138:139]
	v_fma_f64 v[136:137], v[156:157], s[8:9], v[136:137]
	v_fma_f64 v[138:139], v[158:159], s[8:9], -v[138:139]
	v_fma_f64 v[144:145], v[156:157], s[16:17], -v[140:141]
	v_fma_f64 v[146:147], v[158:159], s[16:17], v[142:143]
	v_fma_f64 v[140:141], v[156:157], s[16:17], v[140:141]
	v_fma_f64 v[142:143], v[158:159], s[16:17], -v[142:143]
	v_add_f64 v[110:111], v[152:153], v[110:111]
	v_add_f64 v[128:129], v[32:33], v[128:129]
	;; [unrolled: 1-line block ×9, first 2 shown]
	s_mov_b64 s[8:9], exec
	buffer_load_dword v23, off, s[64:67], 0 ; 4-byte Folded Reload
	buffer_load_dword v24, off, s[64:67], 0 offset:4 ; 4-byte Folded Reload
	buffer_load_dword v25, off, s[64:67], 0 offset:8 ; 4-byte Folded Reload
	;; [unrolled: 1-line block ×7, first 2 shown]
	s_and_b64 s[10:11], s[8:9], s[2:3]
	s_mov_b64 exec, s[10:11]
	s_cbranch_execz .LBB0_11
; %bb.10:
	ds_write_b128 v255, v[100:103]
	ds_write_b128 v255, v[104:107] offset:2720
	ds_write_b128 v255, v[108:111] offset:5440
	;; [unrolled: 1-line block ×10, first 2 shown]
.LBB0_11:
	s_or_b64 exec, exec, s[8:9]
	s_waitcnt vmcnt(0) lgkmcnt(0)
	s_barrier
	s_and_saveexec_b64 s[8:9], s[0:1]
	s_cbranch_execz .LBB0_13
; %bb.12:
	v_add_co_u32_e32 v144, vcc, s12, v255
	v_mov_b32_e32 v0, s13
	v_addc_co_u32_e32 v145, vcc, 0, v0, vcc
	v_add_co_u32_e32 v0, vcc, 0x74e0, v144
	v_addc_co_u32_e32 v1, vcc, 0, v145, vcc
	v_add_co_u32_e32 v2, vcc, 0x7000, v144
	v_addc_co_u32_e32 v3, vcc, 0, v145, vcc
	global_load_dwordx4 v[150:153], v[2:3], off offset:1248
	ds_read_b128 v[146:149], v255
	s_mov_b32 s10, 0x8000
	s_waitcnt vmcnt(0) lgkmcnt(0)
	v_mul_f64 v[2:3], v[148:149], v[152:153]
	v_fma_f64 v[154:155], v[146:147], v[150:151], -v[2:3]
	v_mul_f64 v[2:3], v[146:147], v[152:153]
	v_fma_f64 v[156:157], v[148:149], v[150:151], v[2:3]
	global_load_dwordx4 v[150:153], v[0:1], off offset:1760
	ds_read_b128 v[146:149], v255 offset:1760
	ds_write_b128 v255, v[154:157]
	s_waitcnt vmcnt(0) lgkmcnt(1)
	v_mul_f64 v[2:3], v[148:149], v[152:153]
	v_fma_f64 v[154:155], v[146:147], v[150:151], -v[2:3]
	v_mul_f64 v[2:3], v[146:147], v[152:153]
	v_fma_f64 v[156:157], v[148:149], v[150:151], v[2:3]
	global_load_dwordx4 v[150:153], v[0:1], off offset:3520
	ds_read_b128 v[146:149], v255 offset:3520
	ds_write_b128 v255, v[154:157] offset:1760
	s_waitcnt vmcnt(0) lgkmcnt(1)
	v_mul_f64 v[0:1], v[148:149], v[152:153]
	v_fma_f64 v[154:155], v[146:147], v[150:151], -v[0:1]
	v_mul_f64 v[0:1], v[146:147], v[152:153]
	v_fma_f64 v[156:157], v[148:149], v[150:151], v[0:1]
	v_add_co_u32_e32 v0, vcc, s10, v144
	v_addc_co_u32_e32 v1, vcc, 0, v145, vcc
	global_load_dwordx4 v[150:153], v[0:1], off offset:2432
	ds_read_b128 v[146:149], v255 offset:5280
	s_mov_b32 s10, 0x9000
	ds_write_b128 v255, v[154:157] offset:3520
	s_waitcnt vmcnt(0) lgkmcnt(1)
	v_mul_f64 v[0:1], v[148:149], v[152:153]
	v_fma_f64 v[154:155], v[146:147], v[150:151], -v[0:1]
	v_mul_f64 v[0:1], v[146:147], v[152:153]
	v_fma_f64 v[156:157], v[148:149], v[150:151], v[0:1]
	v_add_co_u32_e32 v0, vcc, s10, v144
	v_addc_co_u32_e32 v1, vcc, 0, v145, vcc
	global_load_dwordx4 v[150:153], v[0:1], off offset:96
	ds_read_b128 v[146:149], v255 offset:7040
	s_mov_b32 s10, 0xa000
	ds_write_b128 v255, v[154:157] offset:5280
	s_waitcnt vmcnt(0) lgkmcnt(1)
	v_mul_f64 v[2:3], v[148:149], v[152:153]
	v_fma_f64 v[154:155], v[146:147], v[150:151], -v[2:3]
	v_mul_f64 v[2:3], v[146:147], v[152:153]
	v_fma_f64 v[156:157], v[148:149], v[150:151], v[2:3]
	global_load_dwordx4 v[150:153], v[0:1], off offset:1856
	ds_read_b128 v[146:149], v255 offset:8800
	ds_write_b128 v255, v[154:157] offset:7040
	s_waitcnt vmcnt(0) lgkmcnt(1)
	v_mul_f64 v[2:3], v[148:149], v[152:153]
	v_fma_f64 v[154:155], v[146:147], v[150:151], -v[2:3]
	v_mul_f64 v[2:3], v[146:147], v[152:153]
	v_fma_f64 v[156:157], v[148:149], v[150:151], v[2:3]
	global_load_dwordx4 v[150:153], v[0:1], off offset:3616
	ds_read_b128 v[146:149], v255 offset:10560
	ds_write_b128 v255, v[154:157] offset:8800
	s_waitcnt vmcnt(0) lgkmcnt(1)
	v_mul_f64 v[0:1], v[148:149], v[152:153]
	v_fma_f64 v[154:155], v[146:147], v[150:151], -v[0:1]
	v_mul_f64 v[0:1], v[146:147], v[152:153]
	v_fma_f64 v[156:157], v[148:149], v[150:151], v[0:1]
	v_add_co_u32_e32 v0, vcc, s10, v144
	v_addc_co_u32_e32 v1, vcc, 0, v145, vcc
	global_load_dwordx4 v[150:153], v[0:1], off offset:1280
	ds_read_b128 v[146:149], v255 offset:12320
	s_mov_b32 s10, 0xb000
	ds_write_b128 v255, v[154:157] offset:10560
	s_waitcnt vmcnt(0) lgkmcnt(1)
	v_mul_f64 v[2:3], v[148:149], v[152:153]
	v_fma_f64 v[154:155], v[146:147], v[150:151], -v[2:3]
	v_mul_f64 v[2:3], v[146:147], v[152:153]
	v_fma_f64 v[156:157], v[148:149], v[150:151], v[2:3]
	global_load_dwordx4 v[150:153], v[0:1], off offset:3040
	ds_read_b128 v[146:149], v255 offset:14080
	ds_write_b128 v255, v[154:157] offset:12320
	s_waitcnt vmcnt(0) lgkmcnt(1)
	v_mul_f64 v[0:1], v[148:149], v[152:153]
	v_fma_f64 v[154:155], v[146:147], v[150:151], -v[0:1]
	v_mul_f64 v[0:1], v[146:147], v[152:153]
	v_fma_f64 v[156:157], v[148:149], v[150:151], v[0:1]
	v_add_co_u32_e32 v0, vcc, s10, v144
	v_addc_co_u32_e32 v1, vcc, 0, v145, vcc
	global_load_dwordx4 v[150:153], v[0:1], off offset:704
	ds_read_b128 v[146:149], v255 offset:15840
	s_mov_b32 s10, 0xc000
	;; [unrolled: 19-line block ×3, first 2 shown]
	ds_write_b128 v255, v[154:157] offset:17600
	s_waitcnt vmcnt(0) lgkmcnt(1)
	v_mul_f64 v[2:3], v[148:149], v[152:153]
	v_fma_f64 v[154:155], v[146:147], v[150:151], -v[2:3]
	v_mul_f64 v[2:3], v[146:147], v[152:153]
	v_fma_f64 v[156:157], v[148:149], v[150:151], v[2:3]
	global_load_dwordx4 v[150:153], v[0:1], off offset:1888
	ds_read_b128 v[146:149], v255 offset:21120
	ds_write_b128 v255, v[154:157] offset:19360
	s_waitcnt vmcnt(0) lgkmcnt(1)
	v_mul_f64 v[2:3], v[148:149], v[152:153]
	v_fma_f64 v[154:155], v[146:147], v[150:151], -v[2:3]
	v_mul_f64 v[2:3], v[146:147], v[152:153]
	v_fma_f64 v[156:157], v[148:149], v[150:151], v[2:3]
	global_load_dwordx4 v[150:153], v[0:1], off offset:3648
	ds_read_b128 v[146:149], v255 offset:22880
	ds_write_b128 v255, v[154:157] offset:21120
	s_waitcnt vmcnt(0) lgkmcnt(1)
	v_mul_f64 v[0:1], v[148:149], v[152:153]
	v_fma_f64 v[154:155], v[146:147], v[150:151], -v[0:1]
	v_mul_f64 v[0:1], v[146:147], v[152:153]
	v_fma_f64 v[156:157], v[148:149], v[150:151], v[0:1]
	v_add_co_u32_e32 v0, vcc, s10, v144
	v_addc_co_u32_e32 v1, vcc, 0, v145, vcc
	global_load_dwordx4 v[150:153], v[0:1], off offset:1312
	ds_read_b128 v[146:149], v255 offset:24640
	s_mov_b32 s10, 0xe000
	ds_write_b128 v255, v[154:157] offset:22880
	s_waitcnt vmcnt(0) lgkmcnt(1)
	v_mul_f64 v[2:3], v[148:149], v[152:153]
	v_fma_f64 v[154:155], v[146:147], v[150:151], -v[2:3]
	v_mul_f64 v[2:3], v[146:147], v[152:153]
	v_fma_f64 v[156:157], v[148:149], v[150:151], v[2:3]
	global_load_dwordx4 v[150:153], v[0:1], off offset:3072
	ds_read_b128 v[146:149], v255 offset:26400
	ds_write_b128 v255, v[154:157] offset:24640
	s_waitcnt vmcnt(0) lgkmcnt(1)
	v_mul_f64 v[0:1], v[148:149], v[152:153]
	v_fma_f64 v[154:155], v[146:147], v[150:151], -v[0:1]
	v_mul_f64 v[0:1], v[146:147], v[152:153]
	v_fma_f64 v[156:157], v[148:149], v[150:151], v[0:1]
	v_add_co_u32_e32 v0, vcc, s10, v144
	v_addc_co_u32_e32 v1, vcc, 0, v145, vcc
	global_load_dwordx4 v[150:153], v[0:1], off offset:736
	ds_read_b128 v[146:149], v255 offset:28160
	ds_write_b128 v255, v[154:157] offset:26400
	s_waitcnt vmcnt(0) lgkmcnt(1)
	v_mul_f64 v[0:1], v[148:149], v[152:153]
	v_fma_f64 v[144:145], v[146:147], v[150:151], -v[0:1]
	v_mul_f64 v[0:1], v[146:147], v[152:153]
	v_fma_f64 v[146:147], v[148:149], v[150:151], v[0:1]
	ds_write_b128 v255, v[144:147] offset:28160
.LBB0_13:
	s_or_b64 exec, exec, s[8:9]
	s_waitcnt lgkmcnt(0)
	s_barrier
	s_and_saveexec_b64 s[8:9], s[0:1]
	s_cbranch_execz .LBB0_15
; %bb.14:
	ds_read_b128 v[100:103], v255
	ds_read_b128 v[104:107], v255 offset:1760
	ds_read_b128 v[108:111], v255 offset:3520
	;; [unrolled: 1-line block ×16, first 2 shown]
.LBB0_15:
	s_or_b64 exec, exec, s[8:9]
	s_waitcnt lgkmcnt(0)
	v_add_f64 v[185:186], v[106:107], -v[8:9]
	v_add_f64 v[183:184], v[106:107], v[8:9]
	s_mov_b32 s8, 0x910ea3b9
	s_mov_b32 s10, 0x4363dd80
	;; [unrolled: 1-line block ×4, first 2 shown]
	v_add_f64 v[181:182], v[104:105], v[6:7]
	v_add_f64 v[233:234], v[104:105], -v[6:7]
	v_mul_f64 v[148:149], v[185:186], s[10:11]
	v_mul_f64 v[152:153], v[183:184], s[8:9]
	v_add_f64 v[191:192], v[110:111], -v[12:13]
	v_add_f64 v[189:190], v[110:111], v[12:13]
	s_mov_b32 s42, 0x7c9e640b
	s_mov_b32 s16, 0x2b2883cd
	;; [unrolled: 1-line block ×4, first 2 shown]
	v_add_f64 v[187:188], v[108:109], v[10:11]
	v_add_f64 v[237:238], v[108:109], -v[10:11]
	v_fma_f64 v[0:1], v[181:182], s[8:9], -v[148:149]
	v_fma_f64 v[2:3], v[233:234], s[10:11], v[152:153]
	v_mul_f64 v[150:151], v[191:192], s[42:43]
	v_mul_f64 v[154:155], v[189:190], s[16:17]
	v_add_f64 v[197:198], v[114:115], -v[16:17]
	v_add_f64 v[195:196], v[114:115], v[16:17]
	s_mov_b32 s18, 0x3259b75e
	s_mov_b32 s24, 0xeb564b22
	;; [unrolled: 1-line block ×4, first 2 shown]
	v_fma_f64 v[32:33], v[187:188], s[16:17], -v[150:151]
	v_add_f64 v[0:1], v[100:101], v[0:1]
	v_add_f64 v[2:3], v[102:103], v[2:3]
	v_fma_f64 v[34:35], v[237:238], s[42:43], v[154:155]
	v_add_f64 v[193:194], v[112:113], v[14:15]
	v_add_f64 v[217:218], v[112:113], -v[14:15]
	v_mul_f64 v[156:157], v[197:198], s[24:25]
	v_mul_f64 v[158:159], v[195:196], s[18:19]
	v_add_f64 v[207:208], v[130:131], -v[21:22]
	v_add_f64 v[201:202], v[130:131], v[21:22]
	s_mov_b32 s22, 0x6ed5f1bb
	s_mov_b32 s52, 0x6c9a05f6
	s_mov_b32 s23, 0xbfe348c8
	s_mov_b32 s53, 0x3fe9895b
	v_add_f64 v[0:1], v[32:33], v[0:1]
	v_add_f64 v[2:3], v[34:35], v[2:3]
	v_fma_f64 v[32:33], v[193:194], s[18:19], -v[156:157]
	v_fma_f64 v[34:35], v[217:218], s[24:25], v[158:159]
	v_add_f64 v[199:200], v[128:129], v[19:20]
	v_add_f64 v[225:226], v[128:129], -v[19:20]
	v_mul_f64 v[160:161], v[207:208], s[52:53]
	v_mul_f64 v[162:163], v[201:202], s[22:23]
	v_add_f64 v[215:216], v[134:135], -v[25:26]
	v_add_f64 v[205:206], v[134:135], v[25:26]
	s_mov_b32 s28, 0x370991
	s_mov_b32 s30, 0x5d8e7cdc
	s_mov_b32 s29, 0x3fedd6d0
	s_mov_b32 s31, 0xbfd71e95
	v_add_f64 v[0:1], v[32:33], v[0:1]
	v_add_f64 v[2:3], v[34:35], v[2:3]
	v_fma_f64 v[32:33], v[199:200], s[22:23], -v[160:161]
	;; [unrolled: 14-line block ×5, first 2 shown]
	v_fma_f64 v[34:35], v[239:240], s[50:51], v[174:175]
	v_add_f64 v[221:222], v[124:125], v[120:121]
	v_add_f64 v[243:244], v[124:125], -v[120:121]
	v_mul_f64 v[176:177], v[241:242], s[40:41]
	v_mul_f64 v[178:179], v[223:224], s[38:39]
	s_barrier
	v_add_f64 v[0:1], v[32:33], v[0:1]
	v_add_f64 v[2:3], v[34:35], v[2:3]
	v_fma_f64 v[32:33], v[221:222], s[38:39], -v[176:177]
	v_fma_f64 v[34:35], v[243:244], s[40:41], v[178:179]
	v_add_f64 v[144:145], v[32:33], v[0:1]
	v_add_f64 v[146:147], v[34:35], v[2:3]
	s_and_saveexec_b64 s[20:21], s[0:1]
	s_cbranch_execz .LBB0_17
; %bb.16:
	buffer_store_dword v36, off, s[64:67], 0 offset:16 ; 4-byte Folded Spill
	s_nop 0
	buffer_store_dword v37, off, s[64:67], 0 offset:20 ; 4-byte Folded Spill
	buffer_store_dword v38, off, s[64:67], 0 offset:24 ; 4-byte Folded Spill
	;; [unrolled: 1-line block ×4, first 2 shown]
	s_nop 0
	buffer_store_dword v247, off, s[64:67], 0 offset:76 ; 4-byte Folded Spill
	buffer_store_dword v248, off, s[64:67], 0 offset:80 ; 4-byte Folded Spill
	;; [unrolled: 1-line block ×3, first 2 shown]
	v_mul_f64 v[36:37], v[185:186], s[34:35]
	s_mov_b32 s49, 0x3fd71e95
	s_mov_b32 s48, s30
	buffer_store_dword v28, off, s[64:67], 0 offset:184 ; 4-byte Folded Spill
	s_nop 0
	buffer_store_dword v29, off, s[64:67], 0 offset:188 ; 4-byte Folded Spill
	buffer_store_dword v30, off, s[64:67], 0 offset:192 ; 4-byte Folded Spill
	buffer_store_dword v31, off, s[64:67], 0 offset:196 ; 4-byte Folded Spill
	buffer_store_dword v250, off, s[64:67], 0 offset:200 ; 4-byte Folded Spill
	s_nop 0
	buffer_store_dword v251, off, s[64:67], 0 offset:204 ; 4-byte Folded Spill
	buffer_store_dword v252, off, s[64:67], 0 offset:208 ; 4-byte Folded Spill
	buffer_store_dword v253, off, s[64:67], 0 offset:212 ; 4-byte Folded Spill
	;; [unrolled: 5-line block ×5, first 2 shown]
	v_mul_f64 v[78:79], v[191:192], s[48:49]
	v_fma_f64 v[80:81], v[181:182], s[26:27], -v[36:37]
	buffer_store_dword v82, off, s[64:67], 0 offset:88 ; 4-byte Folded Spill
	s_nop 0
	buffer_store_dword v83, off, s[64:67], 0 offset:92 ; 4-byte Folded Spill
	buffer_store_dword v84, off, s[64:67], 0 offset:96 ; 4-byte Folded Spill
	buffer_store_dword v85, off, s[64:67], 0 offset:100 ; 4-byte Folded Spill
	buffer_store_dword v86, off, s[64:67], 0 offset:152 ; 4-byte Folded Spill
	s_nop 0
	buffer_store_dword v87, off, s[64:67], 0 offset:156 ; 4-byte Folded Spill
	buffer_store_dword v88, off, s[64:67], 0 offset:160 ; 4-byte Folded Spill
	buffer_store_dword v89, off, s[64:67], 0 offset:164 ; 4-byte Folded Spill
	;; [unrolled: 5-line block ×3, first 2 shown]
	v_mul_f64 v[90:91], v[197:198], s[10:11]
	v_mov_b32_e32 v28, v94
	v_mov_b32_e32 v29, v95
	v_fma_f64 v[92:93], v[187:188], s[28:29], -v[78:79]
	v_add_f64 v[80:81], v[100:101], v[80:81]
	v_mov_b32_e32 v30, v96
	v_mov_b32_e32 v31, v97
	v_mul_f64 v[96:97], v[207:208], s[50:51]
	v_fma_f64 v[98:99], v[193:194], s[8:9], -v[90:91]
	s_mov_b32 s45, 0xbfe9895b
	s_mov_b32 s44, s52
	buffer_store_dword v6, off, s[64:67], 0 offset:216 ; 4-byte Folded Spill
	s_nop 0
	buffer_store_dword v7, off, s[64:67], 0 offset:220 ; 4-byte Folded Spill
	buffer_store_dword v8, off, s[64:67], 0 offset:224 ; 4-byte Folded Spill
	;; [unrolled: 1-line block ×3, first 2 shown]
	v_add_f64 v[80:81], v[92:93], v[80:81]
	buffer_store_dword v10, off, s[64:67], 0 offset:232 ; 4-byte Folded Spill
	s_nop 0
	buffer_store_dword v11, off, s[64:67], 0 offset:236 ; 4-byte Folded Spill
	buffer_store_dword v12, off, s[64:67], 0 offset:240 ; 4-byte Folded Spill
	buffer_store_dword v13, off, s[64:67], 0 offset:244 ; 4-byte Folded Spill
	v_mul_f64 v[8:9], v[215:216], s[44:45]
	v_fma_f64 v[10:11], v[199:200], s[36:37], -v[96:97]
	buffer_store_dword v14, off, s[64:67], 0 offset:248 ; 4-byte Folded Spill
	s_nop 0
	buffer_store_dword v15, off, s[64:67], 0 offset:252 ; 4-byte Folded Spill
	buffer_store_dword v16, off, s[64:67], 0 offset:256 ; 4-byte Folded Spill
	;; [unrolled: 1-line block ×4, first 2 shown]
	s_nop 0
	buffer_store_dword v20, off, s[64:67], 0 offset:268 ; 4-byte Folded Spill
	buffer_store_dword v21, off, s[64:67], 0 offset:272 ; 4-byte Folded Spill
	;; [unrolled: 1-line block ×3, first 2 shown]
	v_mul_f64 v[34:35], v[233:234], s[34:35]
	v_mul_f64 v[16:17], v[227:228], s[42:43]
	v_add_f64 v[80:81], v[98:99], v[80:81]
	v_mov_b32_e32 v254, v18
	v_fma_f64 v[18:19], v[203:204], s[22:23], -v[8:9]
	buffer_store_dword v23, off, s[64:67], 0 ; 4-byte Folded Spill
	s_nop 0
	buffer_store_dword v24, off, s[64:67], 0 offset:4 ; 4-byte Folded Spill
	buffer_store_dword v25, off, s[64:67], 0 offset:8 ; 4-byte Folded Spill
	;; [unrolled: 1-line block ×3, first 2 shown]
	v_mul_f64 v[250:251], v[237:238], s[48:49]
	v_mul_f64 v[20:21], v[235:236], s[40:41]
	v_fma_f64 v[36:37], v[181:182], s[26:27], v[36:37]
	v_fma_f64 v[22:23], v[209:210], s[16:17], -v[16:17]
	v_add_f64 v[10:11], v[10:11], v[80:81]
	v_mul_f64 v[0:1], v[181:182], s[8:9]
	v_mul_f64 v[2:3], v[233:234], s[10:11]
	v_fma_f64 v[38:39], v[183:184], s[26:27], v[34:35]
	v_mul_f64 v[74:75], v[217:218], s[10:11]
	v_fma_f64 v[26:27], v[213:214], s[38:39], -v[20:21]
	v_fma_f64 v[78:79], v[187:188], s[28:29], v[78:79]
	v_add_f64 v[36:37], v[100:101], v[36:37]
	v_add_f64 v[10:11], v[18:19], v[10:11]
	v_fma_f64 v[18:19], v[183:184], s[26:27], -v[34:35]
	v_mul_f64 v[32:33], v[187:188], s[16:17]
	v_mul_f64 v[246:247], v[237:238], s[42:43]
	v_fma_f64 v[76:77], v[189:190], s[28:29], v[250:251]
	v_add_f64 v[38:39], v[102:103], v[38:39]
	v_mul_f64 v[86:87], v[225:226], s[50:51]
	v_add_f64 v[2:3], v[152:153], -v[2:3]
	v_add_f64 v[10:11], v[22:23], v[10:11]
	v_fma_f64 v[22:23], v[189:190], s[28:29], -v[250:251]
	v_add_f64 v[18:19], v[102:103], v[18:19]
	v_add_f64 v[0:1], v[0:1], v[148:149]
	;; [unrolled: 1-line block ×3, first 2 shown]
	v_mul_f64 v[252:253], v[217:218], s[24:25]
	v_fma_f64 v[88:89], v[195:196], s[8:9], v[74:75]
	v_add_f64 v[38:39], v[76:77], v[38:39]
	v_add_f64 v[10:11], v[26:27], v[10:11]
	v_fma_f64 v[26:27], v[195:196], s[8:9], -v[74:75]
	v_add_f64 v[18:19], v[22:23], v[18:19]
	v_fma_f64 v[22:23], v[193:194], s[8:9], v[90:91]
	v_mul_f64 v[76:77], v[229:230], s[44:45]
	v_add_f64 v[74:75], v[154:155], -v[246:247]
	v_add_f64 v[2:3], v[102:103], v[2:3]
	v_add_f64 v[32:33], v[32:33], v[150:151]
	;; [unrolled: 1-line block ×3, first 2 shown]
	v_fma_f64 v[78:79], v[201:202], s[36:37], -v[86:87]
	v_add_f64 v[18:19], v[26:27], v[18:19]
	v_fma_f64 v[26:27], v[199:200], s[36:37], v[96:97]
	v_add_f64 v[22:23], v[22:23], v[36:37]
	v_mul_f64 v[248:249], v[193:194], s[18:19]
	v_mul_f64 v[70:71], v[225:226], s[52:53]
	;; [unrolled: 1-line block ×3, first 2 shown]
	v_add_f64 v[36:37], v[158:159], -v[252:253]
	v_add_f64 v[2:3], v[74:75], v[2:3]
	v_add_f64 v[0:1], v[32:33], v[0:1]
	v_fma_f64 v[32:33], v[205:206], s[22:23], -v[76:77]
	v_add_f64 v[18:19], v[78:79], v[18:19]
	v_fma_f64 v[8:9], v[203:204], s[22:23], v[8:9]
	v_add_f64 v[22:23], v[26:27], v[22:23]
	v_mul_f64 v[68:69], v[199:200], s[22:23]
	v_mul_f64 v[82:83], v[229:230], s[30:31]
	v_fma_f64 v[94:95], v[201:202], s[36:37], v[86:87]
	v_add_f64 v[38:39], v[88:89], v[38:39]
	v_mul_f64 v[12:13], v[239:240], s[40:41]
	v_fma_f64 v[14:15], v[211:212], s[16:17], v[4:5]
	v_add_f64 v[74:75], v[248:249], v[156:157]
	v_add_f64 v[26:27], v[162:163], -v[70:71]
	v_add_f64 v[2:3], v[36:37], v[2:3]
	v_fma_f64 v[4:5], v[211:212], s[16:17], -v[4:5]
	v_add_f64 v[18:19], v[32:33], v[18:19]
	v_fma_f64 v[16:17], v[209:210], s[16:17], v[16:17]
	v_add_f64 v[8:9], v[8:9], v[22:23]
	s_mov_b32 s60, s24
	v_mul_f64 v[72:73], v[203:204], s[28:29]
	v_mul_f64 v[88:89], v[231:232], s[34:35]
	v_fma_f64 v[6:7], v[205:206], s[22:23], v[76:77]
	v_add_f64 v[38:39], v[94:95], v[38:39]
	v_fma_f64 v[80:81], v[219:220], s[38:39], v[12:13]
	v_mul_f64 v[24:25], v[241:242], s[60:61]
	v_add_f64 v[36:37], v[68:69], v[160:161]
	v_add_f64 v[0:1], v[74:75], v[0:1]
	v_add_f64 v[22:23], v[166:167], -v[82:83]
	v_add_f64 v[2:3], v[26:27], v[2:3]
	v_fma_f64 v[12:13], v[219:220], s[38:39], -v[12:13]
	v_add_f64 v[4:5], v[4:5], v[18:19]
	v_fma_f64 v[18:19], v[213:214], s[38:39], v[20:21]
	v_add_f64 v[8:9], v[16:17], v[8:9]
	v_mul_f64 v[84:85], v[209:210], s[26:27]
	v_mul_f64 v[94:95], v[239:240], s[50:51]
	v_add_f64 v[6:7], v[6:7], v[38:39]
	v_add_f64 v[26:27], v[72:73], v[164:165]
	;; [unrolled: 1-line block ×3, first 2 shown]
	v_add_f64 v[16:17], v[170:171], -v[88:89]
	v_add_f64 v[2:3], v[22:23], v[2:3]
	v_add_f64 v[4:5], v[12:13], v[4:5]
	v_fma_f64 v[12:13], v[221:222], s[18:19], v[24:25]
	v_add_f64 v[8:9], v[18:19], v[8:9]
	v_mul_f64 v[38:39], v[243:244], s[60:61]
	v_add_f64 v[6:7], v[14:15], v[6:7]
	v_add_f64 v[20:21], v[84:85], v[168:169]
	v_add_f64 v[0:1], v[26:27], v[0:1]
	v_add_f64 v[18:19], v[174:175], -v[94:95]
	v_add_f64 v[2:3], v[16:17], v[2:3]
	s_mov_b32 s57, 0x3feec746
	v_add_f64 v[152:153], v[12:13], v[8:9]
	v_mul_f64 v[12:13], v[233:234], s[44:45]
	s_mov_b32 s56, s40
	v_fma_f64 v[34:35], v[223:224], s[18:19], v[38:39]
	v_add_f64 v[6:7], v[80:81], v[6:7]
	v_fma_f64 v[80:81], v[221:222], s[18:19], -v[24:25]
	v_add_f64 v[0:1], v[20:21], v[0:1]
	v_add_f64 v[2:3], v[18:19], v[2:3]
	v_mul_f64 v[18:19], v[185:186], s[44:45]
	v_mul_f64 v[20:21], v[237:238], s[56:57]
	v_fma_f64 v[24:25], v[183:184], s[22:23], v[12:13]
	v_fma_f64 v[12:13], v[183:184], s[22:23], -v[12:13]
	v_mul_f64 v[92:93], v[213:214], s[36:37]
	v_fma_f64 v[22:23], v[223:224], s[18:19], -v[38:39]
	v_add_f64 v[150:151], v[34:35], v[6:7]
	v_mul_f64 v[32:33], v[191:192], s[56:57]
	v_fma_f64 v[34:35], v[181:182], s[22:23], -v[18:19]
	v_mul_f64 v[38:39], v[217:218], s[30:31]
	v_fma_f64 v[68:69], v[189:190], s[38:39], v[20:21]
	v_fma_f64 v[20:21], v[189:190], s[38:39], -v[20:21]
	v_add_f64 v[12:13], v[102:103], v[12:13]
	v_add_f64 v[16:17], v[92:93], v[172:173]
	v_add_f64 v[24:25], v[102:103], v[24:25]
	v_mul_f64 v[70:71], v[197:198], s[30:31]
	v_fma_f64 v[72:73], v[187:188], s[38:39], -v[32:33]
	v_add_f64 v[34:35], v[100:101], v[34:35]
	v_mul_f64 v[74:75], v[225:226], s[10:11]
	v_fma_f64 v[76:77], v[195:196], s[28:29], v[38:39]
	v_fma_f64 v[38:39], v[195:196], s[28:29], -v[38:39]
	v_add_f64 v[12:13], v[20:21], v[12:13]
	v_mul_f64 v[14:15], v[243:244], s[40:41]
	v_add_f64 v[0:1], v[16:17], v[0:1]
	v_mul_f64 v[16:17], v[229:230], s[60:61]
	;; [unrolled: 2-line block ×3, first 2 shown]
	v_fma_f64 v[78:79], v[193:194], s[28:29], -v[70:71]
	v_add_f64 v[34:35], v[72:73], v[34:35]
	v_fma_f64 v[72:73], v[201:202], s[8:9], v[74:75]
	v_fma_f64 v[18:19], v[181:182], s[22:23], v[18:19]
	v_fma_f64 v[74:75], v[201:202], s[8:9], -v[74:75]
	v_add_f64 v[12:13], v[38:39], v[12:13]
	s_mov_b32 s47, 0xbfe58eea
	s_mov_b32 s46, s50
	v_add_f64 v[154:155], v[22:23], v[4:5]
	v_add_f64 v[4:5], v[178:179], -v[14:15]
	v_mul_f64 v[14:15], v[231:232], s[46:47]
	v_fma_f64 v[36:37], v[205:206], s[18:19], v[16:17]
	v_add_f64 v[20:21], v[76:77], v[24:25]
	v_mul_f64 v[24:25], v[215:216], s[60:61]
	v_fma_f64 v[76:77], v[199:200], s[8:9], -v[68:69]
	v_add_f64 v[34:35], v[78:79], v[34:35]
	v_fma_f64 v[32:33], v[187:188], s[38:39], v[32:33]
	v_add_f64 v[18:19], v[100:101], v[18:19]
	v_fma_f64 v[16:17], v[205:206], s[18:19], -v[16:17]
	v_add_f64 v[12:13], v[74:75], v[12:13]
	v_add_f64 v[148:149], v[80:81], v[10:11]
	v_mul_f64 v[10:11], v[239:240], s[34:35]
	v_fma_f64 v[26:27], v[211:212], s[36:37], v[14:15]
	v_add_f64 v[20:21], v[72:73], v[20:21]
	v_mul_f64 v[38:39], v[227:228], s[46:47]
	v_fma_f64 v[72:73], v[203:204], s[18:19], -v[24:25]
	v_add_f64 v[34:35], v[76:77], v[34:35]
	v_fma_f64 v[70:71], v[193:194], s[28:29], v[70:71]
	v_add_f64 v[18:19], v[32:33], v[18:19]
	v_fma_f64 v[14:15], v[211:212], s[36:37], -v[14:15]
	v_add_f64 v[12:13], v[16:17], v[12:13]
	v_mul_f64 v[98:99], v[221:222], s[38:39]
	v_mul_f64 v[8:9], v[243:244], s[42:43]
	v_fma_f64 v[22:23], v[219:220], s[26:27], v[10:11]
	v_add_f64 v[20:21], v[36:37], v[20:21]
	v_mul_f64 v[32:33], v[235:236], s[34:35]
	v_fma_f64 v[36:37], v[209:210], s[36:37], -v[38:39]
	v_add_f64 v[34:35], v[72:73], v[34:35]
	v_fma_f64 v[68:69], v[199:200], s[8:9], v[68:69]
	v_add_f64 v[18:19], v[70:71], v[18:19]
	v_fma_f64 v[10:11], v[219:220], s[26:27], -v[10:11]
	v_add_f64 v[12:13], v[14:15], v[12:13]
	v_add_f64 v[6:7], v[98:99], v[176:177]
	;; [unrolled: 1-line block ×3, first 2 shown]
	v_mul_f64 v[20:21], v[241:242], s[42:43]
	v_fma_f64 v[26:27], v[213:214], s[26:27], -v[32:33]
	v_add_f64 v[34:35], v[36:37], v[34:35]
	v_fma_f64 v[24:25], v[203:204], s[18:19], v[24:25]
	v_add_f64 v[18:19], v[68:69], v[18:19]
	v_fma_f64 v[14:15], v[223:224], s[16:17], v[8:9]
	v_fma_f64 v[8:9], v[223:224], s[16:17], -v[8:9]
	v_add_f64 v[10:11], v[10:11], v[12:13]
	v_add_f64 v[162:163], v[4:5], v[2:3]
	v_mul_f64 v[2:3], v[233:234], s[40:41]
	s_mov_b32 s59, 0x3fe0d888
	s_mov_b32 s58, s10
	v_add_f64 v[16:17], v[22:23], v[16:17]
	v_fma_f64 v[22:23], v[221:222], s[16:17], -v[20:21]
	v_add_f64 v[26:27], v[26:27], v[34:35]
	v_fma_f64 v[34:35], v[209:210], s[36:37], v[38:39]
	v_add_f64 v[18:19], v[24:25], v[18:19]
	v_add_f64 v[160:161], v[6:7], v[0:1]
	;; [unrolled: 1-line block ×3, first 2 shown]
	v_mul_f64 v[6:7], v[237:238], s[58:59]
	v_mul_f64 v[10:11], v[185:186], s[40:41]
	v_fma_f64 v[12:13], v[183:184], s[38:39], v[2:3]
	v_add_f64 v[158:159], v[14:15], v[16:17]
	v_add_f64 v[156:157], v[22:23], v[26:27]
	;; [unrolled: 1-line block ×3, first 2 shown]
	v_fma_f64 v[8:9], v[221:222], s[16:17], v[20:21]
	v_mul_f64 v[16:17], v[217:218], s[50:51]
	v_fma_f64 v[18:19], v[189:190], s[8:9], v[6:7]
	v_mul_f64 v[20:21], v[191:192], s[58:59]
	v_fma_f64 v[22:23], v[181:182], s[38:39], -v[10:11]
	v_add_f64 v[12:13], v[102:103], v[12:13]
	s_mov_b32 s55, 0xbfeca52d
	s_mov_b32 s54, s42
	v_fma_f64 v[0:1], v[213:214], s[26:27], v[32:33]
	v_mul_f64 v[24:25], v[225:226], s[54:55]
	v_fma_f64 v[26:27], v[195:196], s[36:37], v[16:17]
	v_mul_f64 v[32:33], v[197:198], s[50:51]
	v_fma_f64 v[34:35], v[187:188], s[8:9], -v[20:21]
	v_add_f64 v[22:23], v[100:101], v[22:23]
	v_add_f64 v[12:13], v[18:19], v[12:13]
	v_fma_f64 v[2:3], v[183:184], s[38:39], -v[2:3]
	v_mul_f64 v[36:37], v[229:230], s[34:35]
	v_fma_f64 v[38:39], v[201:202], s[16:17], v[24:25]
	v_mul_f64 v[68:69], v[207:208], s[54:55]
	v_fma_f64 v[70:71], v[193:194], s[36:37], -v[32:33]
	v_fma_f64 v[6:7], v[189:190], s[8:9], -v[6:7]
	v_add_f64 v[22:23], v[34:35], v[22:23]
	v_add_f64 v[12:13], v[26:27], v[12:13]
	;; [unrolled: 1-line block ×3, first 2 shown]
	v_mul_f64 v[26:27], v[231:232], s[60:61]
	v_fma_f64 v[34:35], v[205:206], s[26:27], v[36:37]
	v_mul_f64 v[72:73], v[215:216], s[34:35]
	v_fma_f64 v[74:75], v[199:200], s[16:17], -v[68:69]
	v_fma_f64 v[16:17], v[195:196], s[36:37], -v[16:17]
	v_add_f64 v[22:23], v[70:71], v[22:23]
	v_add_f64 v[12:13], v[38:39], v[12:13]
	v_add_f64 v[2:3], v[6:7], v[2:3]
	v_mul_f64 v[14:15], v[239:240], s[30:31]
	v_fma_f64 v[38:39], v[211:212], s[18:19], v[26:27]
	v_mul_f64 v[70:71], v[227:228], s[60:61]
	v_fma_f64 v[76:77], v[203:204], s[26:27], -v[72:73]
	v_fma_f64 v[10:11], v[181:182], s[38:39], v[10:11]
	v_add_f64 v[6:7], v[74:75], v[22:23]
	v_add_f64 v[12:13], v[34:35], v[12:13]
	v_fma_f64 v[24:25], v[201:202], s[16:17], -v[24:25]
	v_add_f64 v[2:3], v[16:17], v[2:3]
	v_add_f64 v[0:1], v[0:1], v[4:5]
	v_mul_f64 v[4:5], v[243:244], s[44:45]
	v_fma_f64 v[18:19], v[219:220], s[28:29], v[14:15]
	v_mul_f64 v[22:23], v[235:236], s[30:31]
	v_fma_f64 v[34:35], v[209:210], s[18:19], -v[70:71]
	v_fma_f64 v[20:21], v[187:188], s[8:9], v[20:21]
	v_add_f64 v[10:11], v[100:101], v[10:11]
	v_add_f64 v[6:7], v[76:77], v[6:7]
	;; [unrolled: 1-line block ×3, first 2 shown]
	v_fma_f64 v[36:37], v[205:206], s[26:27], -v[36:37]
	v_add_f64 v[2:3], v[24:25], v[2:3]
	v_mul_f64 v[16:17], v[241:242], s[44:45]
	v_fma_f64 v[38:39], v[213:214], s[28:29], -v[22:23]
	v_fma_f64 v[32:33], v[193:194], s[36:37], v[32:33]
	v_add_f64 v[10:11], v[20:21], v[10:11]
	v_add_f64 v[6:7], v[34:35], v[6:7]
	v_fma_f64 v[20:21], v[223:224], s[22:23], v[4:5]
	v_add_f64 v[12:13], v[18:19], v[12:13]
	v_fma_f64 v[24:25], v[211:212], s[18:19], -v[26:27]
	v_add_f64 v[2:3], v[36:37], v[2:3]
	v_fma_f64 v[18:19], v[221:222], s[22:23], -v[16:17]
	v_fma_f64 v[26:27], v[199:200], s[16:17], v[68:69]
	v_add_f64 v[10:11], v[32:33], v[10:11]
	v_add_f64 v[6:7], v[38:39], v[6:7]
	;; [unrolled: 1-line block ×4, first 2 shown]
	v_fma_f64 v[0:1], v[219:220], s[28:29], -v[14:15]
	v_mul_f64 v[12:13], v[233:234], s[24:25]
	v_add_f64 v[2:3], v[24:25], v[2:3]
	v_mul_f64 v[14:15], v[185:186], s[24:25]
	v_fma_f64 v[8:9], v[203:204], s[26:27], v[72:73]
	v_add_f64 v[10:11], v[26:27], v[10:11]
	v_add_f64 v[168:169], v[18:19], v[6:7]
	v_mul_f64 v[18:19], v[237:238], s[34:35]
	v_fma_f64 v[6:7], v[209:210], s[18:19], v[70:71]
	v_fma_f64 v[20:21], v[183:184], s[18:19], v[12:13]
	v_add_f64 v[0:1], v[0:1], v[2:3]
	v_fma_f64 v[2:3], v[213:214], s[28:29], v[22:23]
	v_mul_f64 v[22:23], v[191:192], s[34:35]
	v_fma_f64 v[24:25], v[181:182], s[18:19], -v[14:15]
	v_add_f64 v[8:9], v[8:9], v[10:11]
	v_mul_f64 v[10:11], v[217:218], s[56:57]
	v_fma_f64 v[26:27], v[189:190], s[26:27], v[18:19]
	v_add_f64 v[20:21], v[102:103], v[20:21]
	v_mul_f64 v[32:33], v[197:198], s[56:57]
	v_fma_f64 v[12:13], v[183:184], s[18:19], -v[12:13]
	v_fma_f64 v[34:35], v[187:188], s[26:27], -v[22:23]
	v_add_f64 v[24:25], v[100:101], v[24:25]
	v_add_f64 v[6:7], v[6:7], v[8:9]
	v_fma_f64 v[8:9], v[221:222], s[22:23], v[16:17]
	v_mul_f64 v[16:17], v[225:226], s[48:49]
	v_fma_f64 v[36:37], v[195:196], s[38:39], v[10:11]
	v_add_f64 v[20:21], v[26:27], v[20:21]
	v_mul_f64 v[26:27], v[207:208], s[48:49]
	v_fma_f64 v[38:39], v[193:194], s[38:39], -v[32:33]
	v_add_f64 v[24:25], v[34:35], v[24:25]
	v_fma_f64 v[18:19], v[189:190], s[26:27], -v[18:19]
	v_add_f64 v[12:13], v[102:103], v[12:13]
	v_add_f64 v[2:3], v[2:3], v[6:7]
	v_mul_f64 v[6:7], v[229:230], s[54:55]
	v_fma_f64 v[34:35], v[201:202], s[28:29], v[16:17]
	v_add_f64 v[20:21], v[36:37], v[20:21]
	v_mul_f64 v[68:69], v[215:216], s[54:55]
	v_fma_f64 v[70:71], v[199:200], s[28:29], -v[26:27]
	v_add_f64 v[24:25], v[38:39], v[24:25]
	v_fma_f64 v[10:11], v[195:196], s[38:39], -v[10:11]
	v_add_f64 v[12:13], v[18:19], v[12:13]
	v_mul_f64 v[36:37], v[231:232], s[10:11]
	v_fma_f64 v[38:39], v[205:206], s[16:17], v[6:7]
	v_add_f64 v[20:21], v[34:35], v[20:21]
	v_mul_f64 v[18:19], v[227:228], s[10:11]
	v_fma_f64 v[72:73], v[203:204], s[16:17], -v[68:69]
	v_add_f64 v[24:25], v[70:71], v[24:25]
	v_fma_f64 v[16:17], v[201:202], s[28:29], -v[16:17]
	v_add_f64 v[10:11], v[10:11], v[12:13]
	v_mul_f64 v[34:35], v[239:240], s[52:53]
	v_fma_f64 v[70:71], v[211:212], s[8:9], v[36:37]
	v_add_f64 v[20:21], v[38:39], v[20:21]
	v_mul_f64 v[12:13], v[235:236], s[52:53]
	v_fma_f64 v[74:75], v[209:210], s[8:9], -v[18:19]
	v_add_f64 v[24:25], v[72:73], v[24:25]
	v_fma_f64 v[14:15], v[181:182], s[18:19], v[14:15]
	v_fma_f64 v[6:7], v[205:206], s[16:17], -v[6:7]
	v_add_f64 v[10:11], v[16:17], v[10:11]
	v_fma_f64 v[4:5], v[223:224], s[22:23], -v[4:5]
	v_fma_f64 v[72:73], v[219:220], s[22:23], v[34:35]
	v_add_f64 v[20:21], v[70:71], v[20:21]
	v_mul_f64 v[16:17], v[241:242], s[50:51]
	v_fma_f64 v[70:71], v[213:214], s[22:23], -v[12:13]
	v_add_f64 v[24:25], v[74:75], v[24:25]
	v_fma_f64 v[22:23], v[187:188], s[26:27], v[22:23]
	v_add_f64 v[14:15], v[100:101], v[14:15]
	v_fma_f64 v[36:37], v[211:212], s[8:9], -v[36:37]
	v_add_f64 v[6:7], v[6:7], v[10:11]
	v_mul_f64 v[38:39], v[243:244], s[50:51]
	v_add_f64 v[10:11], v[72:73], v[20:21]
	v_fma_f64 v[20:21], v[221:222], s[36:37], -v[16:17]
	v_add_f64 v[24:25], v[70:71], v[24:25]
	v_add_f64 v[178:179], v[4:5], v[0:1]
	v_fma_f64 v[0:1], v[193:194], s[38:39], v[32:33]
	v_add_f64 v[4:5], v[22:23], v[14:15]
	v_fma_f64 v[14:15], v[219:220], s[22:23], -v[34:35]
	v_add_f64 v[6:7], v[36:37], v[6:7]
	v_add_f64 v[176:177], v[8:9], v[2:3]
	v_mul_f64 v[8:9], v[233:234], s[54:55]
	v_fma_f64 v[74:75], v[223:224], s[36:37], v[38:39]
	v_add_f64 v[172:173], v[20:21], v[24:25]
	v_fma_f64 v[2:3], v[199:200], s[28:29], v[26:27]
	v_add_f64 v[0:1], v[0:1], v[4:5]
	v_mul_f64 v[20:21], v[237:238], s[44:45]
	v_add_f64 v[6:7], v[14:15], v[6:7]
	v_mul_f64 v[14:15], v[185:186], s[54:55]
	v_fma_f64 v[22:23], v[183:184], s[16:17], v[8:9]
	s_mov_b32 s53, 0x3fc7851a
	s_mov_b32 s52, s34
	v_add_f64 v[174:175], v[74:75], v[10:11]
	v_fma_f64 v[10:11], v[209:210], s[8:9], v[18:19]
	v_fma_f64 v[18:19], v[203:204], s[16:17], v[68:69]
	v_add_f64 v[0:1], v[2:3], v[0:1]
	v_mul_f64 v[2:3], v[191:192], s[44:45]
	v_fma_f64 v[24:25], v[181:182], s[16:17], -v[14:15]
	v_mul_f64 v[26:27], v[217:218], s[52:53]
	v_fma_f64 v[32:33], v[189:190], s[22:23], v[20:21]
	v_add_f64 v[22:23], v[102:103], v[22:23]
	v_fma_f64 v[4:5], v[223:224], s[36:37], -v[38:39]
	v_mul_f64 v[36:37], v[225:226], s[56:57]
	v_add_f64 v[0:1], v[18:19], v[0:1]
	v_mul_f64 v[18:19], v[197:198], s[52:53]
	v_fma_f64 v[34:35], v[187:188], s[22:23], -v[2:3]
	v_add_f64 v[24:25], v[100:101], v[24:25]
	v_fma_f64 v[38:39], v[195:196], s[26:27], v[26:27]
	v_add_f64 v[22:23], v[32:33], v[22:23]
	v_fma_f64 v[8:9], v[183:184], s[16:17], -v[8:9]
	v_fma_f64 v[68:69], v[201:202], s[38:39], v[36:37]
	v_add_f64 v[0:1], v[10:11], v[0:1]
	v_mul_f64 v[10:11], v[207:208], s[56:57]
	v_fma_f64 v[32:33], v[193:194], s[26:27], -v[18:19]
	v_add_f64 v[24:25], v[34:35], v[24:25]
	v_mul_f64 v[34:35], v[229:230], s[50:51]
	v_add_f64 v[22:23], v[38:39], v[22:23]
	v_fma_f64 v[20:21], v[189:190], s[22:23], -v[20:21]
	v_add_f64 v[8:9], v[102:103], v[8:9]
	v_mul_f64 v[38:39], v[215:216], s[50:51]
	v_fma_f64 v[70:71], v[199:200], s[38:39], -v[10:11]
	v_fma_f64 v[26:27], v[195:196], s[26:27], -v[26:27]
	v_add_f64 v[24:25], v[32:33], v[24:25]
	v_mul_f64 v[32:33], v[231:232], s[30:31]
	v_fma_f64 v[72:73], v[205:206], s[36:37], v[34:35]
	v_add_f64 v[22:23], v[68:69], v[22:23]
	v_add_f64 v[8:9], v[20:21], v[8:9]
	v_fma_f64 v[12:13], v[213:214], s[22:23], v[12:13]
	v_mul_f64 v[68:69], v[227:228], s[30:31]
	v_fma_f64 v[74:75], v[203:204], s[36:37], -v[38:39]
	v_add_f64 v[20:21], v[70:71], v[24:25]
	v_mul_f64 v[24:25], v[239:240], s[24:25]
	v_fma_f64 v[70:71], v[211:212], s[28:29], v[32:33]
	v_add_f64 v[22:23], v[72:73], v[22:23]
	v_fma_f64 v[36:37], v[201:202], s[38:39], -v[36:37]
	v_add_f64 v[8:9], v[26:27], v[8:9]
	v_mul_f64 v[72:73], v[235:236], s[24:25]
	v_fma_f64 v[76:77], v[209:210], s[28:29], -v[68:69]
	v_add_f64 v[20:21], v[74:75], v[20:21]
	v_mul_f64 v[26:27], v[243:244], s[10:11]
	v_fma_f64 v[74:75], v[219:220], s[18:19], v[24:25]
	v_add_f64 v[22:23], v[70:71], v[22:23]
	v_fma_f64 v[34:35], v[205:206], s[36:37], -v[34:35]
	v_add_f64 v[8:9], v[36:37], v[8:9]
	v_fma_f64 v[16:17], v[221:222], s[36:37], v[16:17]
	v_add_f64 v[0:1], v[12:13], v[0:1]
	v_mul_f64 v[70:71], v[241:242], s[10:11]
	v_fma_f64 v[78:79], v[213:214], s[18:19], -v[72:73]
	v_add_f64 v[20:21], v[76:77], v[20:21]
	v_fma_f64 v[12:13], v[223:224], s[8:9], v[26:27]
	v_add_f64 v[22:23], v[74:75], v[22:23]
	v_fma_f64 v[32:33], v[211:212], s[28:29], -v[32:33]
	v_add_f64 v[8:9], v[34:35], v[8:9]
	v_add_f64 v[246:247], v[16:17], v[0:1]
	v_fma_f64 v[0:1], v[181:182], s[16:17], v[14:15]
	v_fma_f64 v[36:37], v[221:222], s[8:9], -v[70:71]
	v_add_f64 v[20:21], v[78:79], v[20:21]
	v_add_f64 v[248:249], v[4:5], v[6:7]
	;; [unrolled: 1-line block ×3, first 2 shown]
	v_fma_f64 v[4:5], v[219:220], s[18:19], -v[24:25]
	v_mul_f64 v[6:7], v[233:234], s[46:47]
	v_add_f64 v[8:9], v[32:33], v[8:9]
	v_fma_f64 v[2:3], v[187:188], s[22:23], v[2:3]
	v_mul_f64 v[12:13], v[185:186], s[46:47]
	v_add_f64 v[0:1], v[100:101], v[0:1]
	v_add_f64 v[250:251], v[36:37], v[20:21]
	v_mul_f64 v[16:17], v[237:238], s[24:25]
	v_fma_f64 v[14:15], v[223:224], s[8:9], -v[26:27]
	v_fma_f64 v[20:21], v[183:184], s[36:37], v[6:7]
	v_add_f64 v[4:5], v[4:5], v[8:9]
	v_fma_f64 v[8:9], v[193:194], s[26:27], v[18:19]
	v_mul_f64 v[18:19], v[191:192], s[24:25]
	v_fma_f64 v[22:23], v[181:182], s[36:37], -v[12:13]
	v_add_f64 v[0:1], v[2:3], v[0:1]
	v_mul_f64 v[2:3], v[217:218], s[44:45]
	v_fma_f64 v[24:25], v[189:190], s[18:19], v[16:17]
	v_add_f64 v[20:21], v[102:103], v[20:21]
	v_fma_f64 v[10:11], v[199:200], s[38:39], v[10:11]
	v_mul_f64 v[26:27], v[197:198], s[44:45]
	v_fma_f64 v[32:33], v[187:188], s[18:19], -v[18:19]
	v_add_f64 v[22:23], v[100:101], v[22:23]
	v_add_f64 v[0:1], v[8:9], v[0:1]
	v_mul_f64 v[8:9], v[225:226], s[34:35]
	v_fma_f64 v[34:35], v[195:196], s[22:23], v[2:3]
	v_add_f64 v[20:21], v[24:25], v[20:21]
	v_fma_f64 v[24:25], v[203:204], s[36:37], v[38:39]
	v_mul_f64 v[36:37], v[207:208], s[34:35]
	v_fma_f64 v[38:39], v[193:194], s[22:23], -v[26:27]
	v_add_f64 v[22:23], v[32:33], v[22:23]
	v_add_f64 v[0:1], v[10:11], v[0:1]
	v_mul_f64 v[10:11], v[229:230], s[58:59]
	v_fma_f64 v[32:33], v[201:202], s[26:27], v[8:9]
	v_add_f64 v[20:21], v[34:35], v[20:21]
	v_fma_f64 v[34:35], v[209:210], s[28:29], v[68:69]
	v_mul_f64 v[68:69], v[215:216], s[58:59]
	v_fma_f64 v[74:75], v[199:200], s[26:27], -v[36:37]
	v_add_f64 v[22:23], v[38:39], v[22:23]
	v_add_f64 v[0:1], v[24:25], v[0:1]
	v_mul_f64 v[24:25], v[231:232], s[56:57]
	v_fma_f64 v[38:39], v[205:206], s[8:9], v[10:11]
	v_add_f64 v[20:21], v[32:33], v[20:21]
	v_fma_f64 v[32:33], v[213:214], s[18:19], v[72:73]
	v_mul_f64 v[72:73], v[227:228], s[56:57]
	v_fma_f64 v[76:77], v[203:204], s[8:9], -v[68:69]
	v_add_f64 v[22:23], v[74:75], v[22:23]
	v_add_f64 v[0:1], v[34:35], v[0:1]
	v_mul_f64 v[74:75], v[239:240], s[42:43]
	v_fma_f64 v[34:35], v[211:212], s[38:39], v[24:25]
	v_add_f64 v[20:21], v[38:39], v[20:21]
	v_fma_f64 v[38:39], v[221:222], s[8:9], v[70:71]
	v_mul_f64 v[70:71], v[235:236], s[42:43]
	v_fma_f64 v[78:79], v[209:210], s[38:39], -v[72:73]
	v_add_f64 v[22:23], v[76:77], v[22:23]
	v_add_f64 v[0:1], v[32:33], v[0:1]
	v_fma_f64 v[6:7], v[183:184], s[36:37], -v[6:7]
	v_mul_f64 v[76:77], v[243:244], s[48:49]
	v_fma_f64 v[80:81], v[219:220], s[16:17], v[74:75]
	v_add_f64 v[20:21], v[34:35], v[20:21]
	v_fma_f64 v[84:85], v[213:214], s[16:17], -v[70:71]
	v_add_f64 v[34:35], v[14:15], v[4:5]
	v_add_f64 v[22:23], v[78:79], v[22:23]
	;; [unrolled: 1-line block ×3, first 2 shown]
	v_fma_f64 v[4:5], v[189:190], s[18:19], -v[16:17]
	v_add_f64 v[6:7], v[102:103], v[6:7]
	v_fma_f64 v[12:13], v[181:182], s[36:37], v[12:13]
	v_fma_f64 v[38:39], v[219:220], s[16:17], -v[74:75]
	v_mul_f64 v[74:75], v[233:234], s[30:31]
	v_fma_f64 v[0:1], v[223:224], s[28:29], v[76:77]
	v_add_f64 v[14:15], v[80:81], v[20:21]
	v_add_f64 v[20:21], v[84:85], v[22:23]
	v_fma_f64 v[22:23], v[223:224], s[28:29], -v[76:77]
	v_fma_f64 v[2:3], v[195:196], s[22:23], -v[2:3]
	v_add_f64 v[4:5], v[4:5], v[6:7]
	v_fma_f64 v[6:7], v[211:212], s[38:39], -v[24:25]
	v_fma_f64 v[18:19], v[187:188], s[18:19], v[18:19]
	v_add_f64 v[12:13], v[100:101], v[12:13]
	v_mul_f64 v[24:25], v[237:238], s[46:47]
	v_fma_f64 v[76:77], v[183:184], s[28:29], v[74:75]
	v_fma_f64 v[8:9], v[201:202], s[26:27], -v[8:9]
	v_add_f64 v[78:79], v[100:101], v[104:105]
	v_add_f64 v[2:3], v[2:3], v[4:5]
	v_fma_f64 v[4:5], v[193:194], s[22:23], v[26:27]
	v_fma_f64 v[10:11], v[205:206], s[8:9], -v[10:11]
	v_add_f64 v[12:13], v[18:19], v[12:13]
	v_mul_f64 v[18:19], v[217:218], s[54:55]
	v_fma_f64 v[80:81], v[189:190], s[36:37], v[24:25]
	v_add_f64 v[76:77], v[102:103], v[76:77]
	v_mul_f64 v[84:85], v[191:192], s[46:47]
	v_add_f64 v[2:3], v[8:9], v[2:3]
	v_fma_f64 v[8:9], v[199:200], s[26:27], v[36:37]
	v_add_f64 v[36:37], v[78:79], v[108:109]
	v_add_f64 v[4:5], v[4:5], v[12:13]
	v_mul_f64 v[12:13], v[225:226], s[24:25]
	v_fma_f64 v[78:79], v[195:196], s[16:17], v[18:19]
	v_add_f64 v[76:77], v[80:81], v[76:77]
	v_fma_f64 v[90:91], v[187:188], s[36:37], v[84:85]
	v_add_f64 v[2:3], v[10:11], v[2:3]
	v_fma_f64 v[10:11], v[203:204], s[8:9], v[68:69]
	v_mov_b32_e32 v97, v31
	v_mov_b32_e32 v96, v30
	v_fma_f64 v[68:69], v[201:202], s[18:19], v[12:13]
	v_mov_b32_e32 v95, v29
	v_add_f64 v[76:77], v[78:79], v[76:77]
	v_mov_b32_e32 v94, v28
	v_add_f64 v[26:27], v[102:103], v[106:107]
	v_add_f64 v[36:37], v[36:37], v[112:113]
	;; [unrolled: 1-line block ×3, first 2 shown]
	v_fma_f64 v[74:75], v[183:184], s[28:29], -v[74:75]
	v_mul_f64 v[88:89], v[197:198], s[54:55]
	v_fma_f64 v[24:25], v[189:190], s[36:37], -v[24:25]
	v_add_f64 v[68:69], v[68:69], v[76:77]
	v_mul_f64 v[76:77], v[185:186], s[30:31]
	v_add_f64 v[26:27], v[26:27], v[110:111]
	v_add_f64 v[36:37], v[36:37], v[128:129]
	;; [unrolled: 1-line block ×4, first 2 shown]
	v_fma_f64 v[84:85], v[187:188], s[36:37], -v[84:85]
	v_mul_f64 v[82:83], v[241:242], s[48:49]
	v_fma_f64 v[18:19], v[195:196], s[16:17], -v[18:19]
	v_fma_f64 v[86:87], v[181:182], s[28:29], v[76:77]
	v_add_f64 v[26:27], v[26:27], v[114:115]
	v_add_f64 v[36:37], v[36:37], v[132:133]
	;; [unrolled: 1-line block ×3, first 2 shown]
	v_fma_f64 v[76:77], v[181:182], s[28:29], -v[76:77]
	v_add_f64 v[24:25], v[24:25], v[74:75]
	v_fma_f64 v[74:75], v[193:194], s[16:17], v[88:89]
	v_fma_f64 v[88:89], v[193:194], s[16:17], -v[88:89]
	v_add_f64 v[86:87], v[100:101], v[86:87]
	v_add_f64 v[26:27], v[26:27], v[130:131]
	v_fma_f64 v[16:17], v[221:222], s[28:29], -v[82:83]
	v_fma_f64 v[22:23], v[221:222], s[28:29], v[82:83]
	v_add_f64 v[76:77], v[100:101], v[76:77]
	v_mul_f64 v[82:83], v[207:208], s[24:25]
	v_add_f64 v[18:19], v[18:19], v[24:25]
	v_add_f64 v[4:5], v[8:9], v[4:5]
	v_add_f64 v[86:87], v[90:91], v[86:87]
	buffer_load_dword v90, off, s[64:67], 0 offset:168 ; 4-byte Folded Reload
	buffer_load_dword v91, off, s[64:67], 0 offset:172 ; 4-byte Folded Reload
	;; [unrolled: 1-line block ×8, first 2 shown]
	v_add_f64 v[26:27], v[26:27], v[134:135]
	v_add_f64 v[76:77], v[84:85], v[76:77]
	v_fma_f64 v[24:25], v[199:200], s[18:19], v[82:83]
	v_fma_f64 v[82:83], v[199:200], s[18:19], -v[82:83]
	v_mul_f64 v[8:9], v[229:230], s[40:41]
	v_add_f64 v[74:75], v[74:75], v[86:87]
	v_mul_f64 v[80:81], v[215:216], s[40:41]
	v_fma_f64 v[12:13], v[201:202], s[18:19], -v[12:13]
	v_add_f64 v[2:3], v[26:27], v[142:143]
	v_add_f64 v[26:27], v[36:37], v[140:141]
	;; [unrolled: 1-line block ×3, first 2 shown]
	buffer_load_dword v86, off, s[64:67], 0 offset:152 ; 4-byte Folded Reload
	buffer_load_dword v87, off, s[64:67], 0 offset:156 ; 4-byte Folded Reload
	;; [unrolled: 1-line block ×4, first 2 shown]
	v_fma_f64 v[6:7], v[209:210], s[38:39], v[72:73]
	v_fma_f64 v[72:73], v[205:206], s[38:39], v[8:9]
	v_mul_f64 v[78:79], v[227:228], s[44:45]
	v_fma_f64 v[8:9], v[205:206], s[38:39], -v[8:9]
	v_add_f64 v[2:3], v[2:3], v[138:139]
	v_add_f64 v[26:27], v[26:27], v[136:137]
	v_add_f64 v[76:77], v[82:83], v[76:77]
	v_add_f64 v[12:13], v[12:13], v[18:19]
	v_fma_f64 v[18:19], v[203:204], s[38:39], v[80:81]
	v_add_f64 v[24:25], v[24:25], v[74:75]
	v_fma_f64 v[74:75], v[203:204], s[38:39], -v[80:81]
	v_add_f64 v[4:5], v[10:11], v[4:5]
	v_add_f64 v[2:3], v[2:3], v[126:127]
	;; [unrolled: 1-line block ×3, first 2 shown]
	v_mul_f64 v[10:11], v[231:232], s[44:45]
	v_add_f64 v[8:9], v[8:9], v[12:13]
	v_fma_f64 v[12:13], v[209:210], s[22:23], v[78:79]
	v_add_f64 v[18:19], v[18:19], v[24:25]
	v_fma_f64 v[24:25], v[209:210], s[22:23], -v[78:79]
	v_fma_f64 v[38:39], v[213:214], s[16:17], v[70:71]
	v_add_f64 v[2:3], v[2:3], v[122:123]
	v_add_f64 v[26:27], v[26:27], v[120:121]
	;; [unrolled: 1-line block ×3, first 2 shown]
	v_mul_f64 v[6:7], v[239:240], s[10:11]
	v_fma_f64 v[70:71], v[211:212], s[22:23], v[10:11]
	v_fma_f64 v[10:11], v[211:212], s[22:23], -v[10:11]
	v_add_f64 v[68:69], v[72:73], v[68:69]
	v_mul_f64 v[72:73], v[235:236], s[10:11]
	v_add_f64 v[2:3], v[2:3], v[118:119]
	v_add_f64 v[26:27], v[26:27], v[116:117]
	;; [unrolled: 1-line block ×3, first 2 shown]
	v_mul_f64 v[4:5], v[243:244], s[34:35]
	v_fma_f64 v[38:39], v[219:220], s[8:9], v[6:7]
	v_fma_f64 v[6:7], v[219:220], s[8:9], -v[6:7]
	v_add_f64 v[8:9], v[10:11], v[8:9]
	v_fma_f64 v[10:11], v[213:214], s[8:9], v[72:73]
	v_add_f64 v[12:13], v[12:13], v[18:19]
	v_fma_f64 v[18:19], v[213:214], s[8:9], -v[72:73]
	v_add_f64 v[74:75], v[74:75], v[76:77]
	v_fma_f64 v[72:73], v[223:224], s[26:27], -v[4:5]
	v_fma_f64 v[76:77], v[223:224], s[26:27], v[4:5]
	v_add_f64 v[68:69], v[70:71], v[68:69]
	v_add_f64 v[6:7], v[6:7], v[8:9]
	v_mul_f64 v[70:71], v[241:242], s[34:35]
	v_add_f64 v[10:11], v[10:11], v[12:13]
	v_add_f64 v[102:103], v[22:23], v[36:37]
	;; [unrolled: 1-line block ×4, first 2 shown]
	v_lshlrev_b32_e32 v0, 4, v254
	v_add_f64 v[38:39], v[38:39], v[68:69]
	v_add_f64 v[4:5], v[72:73], v[6:7]
	v_fma_f64 v[74:75], v[221:222], s[26:27], v[70:71]
	v_fma_f64 v[68:69], v[221:222], s[26:27], -v[70:71]
	v_add_f64 v[18:19], v[18:19], v[24:25]
	v_add_f64 v[14:15], v[68:69], v[18:19]
	s_waitcnt vmcnt(4)
	v_add_f64 v[2:3], v[2:3], v[30:31]
	v_add_f64 v[26:27], v[26:27], v[28:29]
	buffer_load_dword v28, off, s[64:67], 0 ; 4-byte Folded Reload
	buffer_load_dword v29, off, s[64:67], 0 offset:4 ; 4-byte Folded Reload
	buffer_load_dword v30, off, s[64:67], 0 offset:8 ; 4-byte Folded Reload
	;; [unrolled: 1-line block ×7, first 2 shown]
	s_waitcnt vmcnt(4)
	v_add_f64 v[2:3], v[2:3], v[30:31]
	v_add_f64 v[26:27], v[26:27], v[28:29]
	buffer_load_dword v28, off, s[64:67], 0 offset:264 ; 4-byte Folded Reload
	buffer_load_dword v29, off, s[64:67], 0 offset:268 ; 4-byte Folded Reload
	;; [unrolled: 1-line block ×8, first 2 shown]
	s_waitcnt vmcnt(4)
	v_add_f64 v[2:3], v[2:3], v[30:31]
	v_add_f64 v[26:27], v[26:27], v[28:29]
	buffer_load_dword v28, off, s[64:67], 0 offset:248 ; 4-byte Folded Reload
	buffer_load_dword v29, off, s[64:67], 0 offset:252 ; 4-byte Folded Reload
	buffer_load_dword v30, off, s[64:67], 0 offset:256 ; 4-byte Folded Reload
	buffer_load_dword v31, off, s[64:67], 0 offset:260 ; 4-byte Folded Reload
	s_waitcnt vmcnt(0)
	v_add_f64 v[2:3], v[2:3], v[30:31]
	v_add_f64 v[26:27], v[26:27], v[28:29]
	buffer_load_dword v28, off, s[64:67], 0 offset:232 ; 4-byte Folded Reload
	buffer_load_dword v29, off, s[64:67], 0 offset:236 ; 4-byte Folded Reload
	;; [unrolled: 1-line block ×8, first 2 shown]
	s_waitcnt vmcnt(4)
	v_add_f64 v[2:3], v[2:3], v[30:31]
	v_add_f64 v[26:27], v[26:27], v[28:29]
	s_waitcnt vmcnt(0)
	v_add_f64 v[8:9], v[2:3], v[8:9]
	v_add_f64 v[6:7], v[26:27], v[6:7]
	;; [unrolled: 1-line block ×5, first 2 shown]
	buffer_load_dword v74, off, s[64:67], 0 offset:104 ; 4-byte Folded Reload
	buffer_load_dword v75, off, s[64:67], 0 offset:108 ; 4-byte Folded Reload
	;; [unrolled: 1-line block ×8, first 2 shown]
	ds_write_b128 v0, v[6:9]
	ds_write_b128 v0, v[2:5] offset:16
	ds_write_b128 v0, v[102:105] offset:32
	;; [unrolled: 1-line block ×4, first 2 shown]
	buffer_load_dword v246, off, s[64:67], 0 offset:72 ; 4-byte Folded Reload
	buffer_load_dword v247, off, s[64:67], 0 offset:76 ; 4-byte Folded Reload
	;; [unrolled: 1-line block ×4, first 2 shown]
	ds_write_b128 v0, v[176:179] offset:80
	ds_write_b128 v0, v[164:167] offset:96
	;; [unrolled: 1-line block ×10, first 2 shown]
	buffer_load_dword v250, off, s[64:67], 0 offset:200 ; 4-byte Folded Reload
	buffer_load_dword v251, off, s[64:67], 0 offset:204 ; 4-byte Folded Reload
	;; [unrolled: 1-line block ×8, first 2 shown]
	ds_write_b128 v0, v[10:13] offset:240
	ds_write_b128 v0, v[14:17] offset:256
.LBB0_17:
	s_or_b64 exec, exec, s[20:21]
	s_waitcnt vmcnt(0) lgkmcnt(0)
	s_barrier
	ds_read_b128 v[0:3], v255
	ds_read_b128 v[4:7], v255 offset:2992
	ds_read_b128 v[8:11], v255 offset:5984
	;; [unrolled: 1-line block ×5, first 2 shown]
	s_waitcnt lgkmcnt(4)
	v_mul_f64 v[24:25], v[50:51], v[6:7]
	v_mul_f64 v[26:27], v[50:51], v[4:5]
	s_waitcnt lgkmcnt(3)
	v_mul_f64 v[36:37], v[42:43], v[10:11]
	v_mul_f64 v[38:39], v[42:43], v[8:9]
	ds_read_b128 v[32:35], v255 offset:17952
	ds_read_b128 v[100:103], v255 offset:20944
	;; [unrolled: 1-line block ×4, first 2 shown]
	s_mov_b32 s10, 0x134454ff
	s_mov_b32 s11, 0xbfee6f0e
	v_fma_f64 v[4:5], v[48:49], v[4:5], v[24:25]
	v_fma_f64 v[6:7], v[48:49], v[6:7], -v[26:27]
	s_waitcnt lgkmcnt(6)
	v_mul_f64 v[24:25], v[30:31], v[14:15]
	v_mul_f64 v[26:27], v[30:31], v[12:13]
	v_fma_f64 v[8:9], v[40:41], v[8:9], v[36:37]
	s_waitcnt lgkmcnt(5)
	v_mul_f64 v[30:31], v[248:249], v[18:19]
	v_fma_f64 v[10:11], v[40:41], v[10:11], -v[38:39]
	s_waitcnt lgkmcnt(3)
	v_mul_f64 v[40:41], v[54:55], v[34:35]
	v_mul_f64 v[36:37], v[248:249], v[16:17]
	;; [unrolled: 1-line block ×3, first 2 shown]
	v_fma_f64 v[12:13], v[28:29], v[12:13], v[24:25]
	v_fma_f64 v[14:15], v[28:29], v[14:15], -v[26:27]
	v_mul_f64 v[24:25], v[62:63], v[20:21]
	v_fma_f64 v[16:17], v[246:247], v[16:17], v[30:31]
	s_waitcnt lgkmcnt(1)
	v_mul_f64 v[30:31], v[58:59], v[104:105]
	v_fma_f64 v[28:29], v[52:53], v[32:33], v[40:41]
	v_fma_f64 v[18:19], v[246:247], v[18:19], -v[36:37]
	v_mul_f64 v[36:37], v[58:59], v[106:107]
	v_fma_f64 v[20:21], v[60:61], v[20:21], v[38:39]
	v_mul_f64 v[38:39], v[46:47], v[100:101]
	v_fma_f64 v[22:23], v[60:61], v[22:23], -v[24:25]
	v_mul_f64 v[24:25], v[54:55], v[32:33]
	v_fma_f64 v[30:31], v[56:57], v[106:107], -v[30:31]
	v_add_f64 v[40:41], v[16:17], v[28:29]
	v_mul_f64 v[32:33], v[46:47], v[102:103]
	v_fma_f64 v[36:37], v[56:57], v[104:105], v[36:37]
	s_waitcnt lgkmcnt(0)
	v_mul_f64 v[46:47], v[66:67], v[108:109]
	v_add_f64 v[26:27], v[0:1], v[8:9]
	v_fma_f64 v[38:39], v[44:45], v[102:103], -v[38:39]
	v_fma_f64 v[24:25], v[52:53], v[34:35], -v[24:25]
	v_add_f64 v[52:53], v[8:9], -v[16:17]
	v_fma_f64 v[34:35], v[40:41], -0.5, v[0:1]
	v_add_f64 v[40:41], v[10:11], -v[30:31]
	v_fma_f64 v[32:33], v[44:45], v[100:101], v[32:33]
	v_fma_f64 v[44:45], v[64:65], v[110:111], -v[46:47]
	v_add_f64 v[46:47], v[8:9], v[36:37]
	v_add_f64 v[54:55], v[36:37], -v[28:29]
	v_add_f64 v[50:51], v[18:19], -v[24:25]
	s_mov_b32 s20, 0x4755a5e
	s_mov_b32 s9, 0x3fee6f0e
	v_fma_f64 v[48:49], v[40:41], s[10:11], v[34:35]
	s_mov_b32 s8, s10
	s_mov_b32 s21, 0xbfe2cf23
	v_add_f64 v[26:27], v[26:27], v[16:17]
	v_fma_f64 v[34:35], v[40:41], s[8:9], v[34:35]
	v_fma_f64 v[0:1], v[46:47], -0.5, v[0:1]
	s_mov_b32 s17, 0x3fe2cf23
	s_mov_b32 s16, s20
	v_fma_f64 v[46:47], v[50:51], s[20:21], v[48:49]
	v_add_f64 v[48:49], v[52:53], v[54:55]
	v_add_f64 v[52:53], v[18:19], v[24:25]
	v_add_f64 v[26:27], v[26:27], v[28:29]
	v_fma_f64 v[34:35], v[50:51], s[16:17], v[34:35]
	v_fma_f64 v[54:55], v[50:51], s[8:9], v[0:1]
	v_add_f64 v[56:57], v[16:17], -v[8:9]
	v_add_f64 v[58:59], v[28:29], -v[36:37]
	v_add_f64 v[60:61], v[2:3], v[10:11]
	v_add_f64 v[8:9], v[8:9], -v[36:37]
	v_fma_f64 v[52:53], v[52:53], -0.5, v[2:3]
	v_fma_f64 v[0:1], v[50:51], s[10:11], v[0:1]
	s_mov_b32 s18, 0x372fe950
	s_mov_b32 s19, 0x3fd3c6ef
	v_add_f64 v[26:27], v[26:27], v[36:37]
	v_fma_f64 v[36:37], v[48:49], s[18:19], v[46:47]
	v_fma_f64 v[34:35], v[48:49], s[18:19], v[34:35]
	;; [unrolled: 1-line block ×3, first 2 shown]
	v_add_f64 v[48:49], v[56:57], v[58:59]
	v_add_f64 v[50:51], v[60:61], v[18:19]
	v_fma_f64 v[54:55], v[8:9], s[8:9], v[52:53]
	v_add_f64 v[16:17], v[16:17], -v[28:29]
	v_add_f64 v[28:29], v[10:11], -v[18:19]
	;; [unrolled: 1-line block ×3, first 2 shown]
	v_fma_f64 v[52:53], v[8:9], s[10:11], v[52:53]
	v_add_f64 v[58:59], v[10:11], v[30:31]
	v_fma_f64 v[0:1], v[40:41], s[16:17], v[0:1]
	v_mul_f64 v[42:43], v[66:67], v[110:111]
	v_add_f64 v[40:41], v[50:51], v[24:25]
	v_fma_f64 v[46:47], v[48:49], s[18:19], v[46:47]
	v_add_f64 v[50:51], v[20:21], v[32:33]
	v_fma_f64 v[54:55], v[16:17], s[16:17], v[54:55]
	;; [unrolled: 2-line block ×3, first 2 shown]
	v_fma_f64 v[2:3], v[58:59], -0.5, v[2:3]
	v_fma_f64 v[48:49], v[48:49], s[18:19], v[0:1]
	v_add_f64 v[0:1], v[4:5], v[12:13]
	v_fma_f64 v[42:43], v[64:65], v[108:109], v[42:43]
	v_add_f64 v[56:57], v[40:41], v[30:31]
	v_fma_f64 v[40:41], v[50:51], -0.5, v[4:5]
	v_add_f64 v[50:51], v[14:15], -v[44:45]
	v_fma_f64 v[54:55], v[28:29], s[18:19], v[54:55]
	v_fma_f64 v[52:53], v[28:29], s[18:19], v[52:53]
	v_fma_f64 v[28:29], v[16:17], s[10:11], v[2:3]
	v_add_f64 v[10:11], v[18:19], -v[10:11]
	v_add_f64 v[18:19], v[24:25], -v[30:31]
	v_add_f64 v[0:1], v[0:1], v[20:21]
	v_fma_f64 v[2:3], v[16:17], s[8:9], v[2:3]
	v_fma_f64 v[16:17], v[50:51], s[10:11], v[40:41]
	v_add_f64 v[24:25], v[22:23], -v[38:39]
	v_add_f64 v[30:31], v[12:13], -v[20:21]
	;; [unrolled: 1-line block ×3, first 2 shown]
	v_fma_f64 v[28:29], v[8:9], s[16:17], v[28:29]
	v_add_f64 v[62:63], v[22:23], v[38:39]
	v_add_f64 v[10:11], v[10:11], v[18:19]
	;; [unrolled: 1-line block ×4, first 2 shown]
	v_fma_f64 v[2:3], v[8:9], s[20:21], v[2:3]
	v_fma_f64 v[8:9], v[24:25], s[20:21], v[16:17]
	v_add_f64 v[16:17], v[30:31], v[58:59]
	v_fma_f64 v[18:19], v[50:51], s[8:9], v[40:41]
	v_fma_f64 v[30:31], v[62:63], -0.5, v[6:7]
	v_add_f64 v[40:41], v[12:13], -v[42:43]
	v_fma_f64 v[58:59], v[10:11], s[18:19], v[28:29]
	v_add_f64 v[28:29], v[0:1], v[42:43]
	v_add_f64 v[0:1], v[14:15], v[44:45]
	v_fma_f64 v[4:5], v[60:61], -0.5, v[4:5]
	v_fma_f64 v[60:61], v[10:11], s[18:19], v[2:3]
	v_fma_f64 v[10:11], v[24:25], s[16:17], v[18:19]
	v_add_f64 v[62:63], v[20:21], -v[32:33]
	v_fma_f64 v[18:19], v[40:41], s[8:9], v[30:31]
	v_add_f64 v[64:65], v[14:15], -v[22:23]
	v_add_f64 v[66:67], v[44:45], -v[38:39]
	v_fma_f64 v[0:1], v[0:1], -0.5, v[6:7]
	v_add_f64 v[6:7], v[6:7], v[14:15]
	v_fma_f64 v[2:3], v[24:25], s[8:9], v[4:5]
	v_add_f64 v[12:13], v[20:21], -v[12:13]
	v_add_f64 v[20:21], v[32:33], -v[42:43]
	v_fma_f64 v[4:5], v[24:25], s[10:11], v[4:5]
	v_fma_f64 v[18:19], v[62:63], s[16:17], v[18:19]
	v_add_f64 v[24:25], v[64:65], v[66:67]
	v_fma_f64 v[32:33], v[62:63], s[10:11], v[0:1]
	v_add_f64 v[14:15], v[22:23], -v[14:15]
	v_add_f64 v[42:43], v[38:39], -v[44:45]
	v_fma_f64 v[0:1], v[62:63], s[8:9], v[0:1]
	v_add_f64 v[6:7], v[6:7], v[22:23]
	v_fma_f64 v[22:23], v[40:41], s[10:11], v[30:31]
	v_fma_f64 v[2:3], v[50:51], s[20:21], v[2:3]
	v_add_f64 v[12:13], v[12:13], v[20:21]
	v_fma_f64 v[4:5], v[50:51], s[16:17], v[4:5]
	v_fma_f64 v[18:19], v[24:25], s[18:19], v[18:19]
	;; [unrolled: 1-line block ×3, first 2 shown]
	v_add_f64 v[14:15], v[14:15], v[42:43]
	v_fma_f64 v[0:1], v[40:41], s[20:21], v[0:1]
	v_add_f64 v[6:7], v[6:7], v[38:39]
	v_fma_f64 v[22:23], v[62:63], s[20:21], v[22:23]
	v_fma_f64 v[8:9], v[16:17], s[18:19], v[8:9]
	;; [unrolled: 1-line block ×5, first 2 shown]
	v_mul_f64 v[4:5], v[18:19], s[20:21]
	v_fma_f64 v[16:17], v[14:15], s[18:19], v[20:21]
	v_fma_f64 v[14:15], v[14:15], s[18:19], v[0:1]
	v_add_f64 v[30:31], v[6:7], v[44:45]
	v_fma_f64 v[6:7], v[24:25], s[18:19], v[22:23]
	s_mov_b32 s22, 0x9b97f4a8
	s_mov_b32 s23, 0x3fe9e377
	v_mul_f64 v[18:19], v[18:19], s[22:23]
	v_fma_f64 v[32:33], v[8:9], s[22:23], v[4:5]
	v_mul_f64 v[4:5], v[16:17], s[10:11]
	v_mul_f64 v[20:21], v[14:15], s[10:11]
	s_mov_b32 s11, 0xbfd3c6ef
	s_mov_b32 s10, s18
	v_mul_f64 v[22:23], v[6:7], s[20:21]
	s_mov_b32 s21, 0xbfe9e377
	s_mov_b32 s20, s22
	v_mul_f64 v[16:17], v[16:17], s[18:19]
	v_mul_f64 v[14:15], v[14:15], s[10:11]
	v_mul_f64 v[6:7], v[6:7], s[20:21]
	v_fma_f64 v[38:39], v[2:3], s[18:19], v[4:5]
	v_fma_f64 v[42:43], v[12:13], s[10:11], v[20:21]
	;; [unrolled: 1-line block ×4, first 2 shown]
	v_add_f64 v[0:1], v[26:27], v[28:29]
	v_fma_f64 v[62:63], v[2:3], s[8:9], v[16:17]
	v_fma_f64 v[64:65], v[12:13], s[8:9], v[14:15]
	;; [unrolled: 1-line block ×3, first 2 shown]
	v_add_f64 v[4:5], v[36:37], v[32:33]
	v_add_f64 v[8:9], v[46:47], v[38:39]
	;; [unrolled: 1-line block ×9, first 2 shown]
	v_add_f64 v[24:25], v[26:27], -v[28:29]
	v_add_f64 v[44:45], v[36:37], -v[32:33]
	;; [unrolled: 1-line block ×10, first 2 shown]
	s_barrier
	ds_write_b128 v245, v[0:3]
	ds_write_b128 v245, v[4:7] offset:272
	ds_write_b128 v245, v[8:11] offset:544
	;; [unrolled: 1-line block ×9, first 2 shown]
	s_waitcnt lgkmcnt(0)
	s_barrier
	s_and_saveexec_b64 s[8:9], s[2:3]
	s_cbranch_execz .LBB0_19
; %bb.18:
	ds_read_b128 v[0:3], v255
	ds_read_b128 v[4:7], v255 offset:2720
	ds_read_b128 v[8:11], v255 offset:5440
	ds_read_b128 v[12:15], v255 offset:8160
	ds_read_b128 v[20:23], v255 offset:10880
	ds_read_b128 v[24:27], v255 offset:13600
	ds_read_b128 v[44:47], v255 offset:16320
	ds_read_b128 v[40:43], v255 offset:19040
	ds_read_b128 v[28:31], v255 offset:21760
	ds_read_b128 v[16:19], v255 offset:24480
	ds_read_b128 v[144:147], v255 offset:27200
.LBB0_19:
	s_or_b64 exec, exec, s[8:9]
	s_and_saveexec_b64 s[8:9], s[2:3]
	s_cbranch_execz .LBB0_21
; %bb.20:
	buffer_load_dword v58, off, s[64:67], 0 offset:56 ; 4-byte Folded Reload
	buffer_load_dword v59, off, s[64:67], 0 offset:60 ; 4-byte Folded Reload
	;; [unrolled: 1-line block ×8, first 2 shown]
	s_waitcnt lgkmcnt(3)
	v_mul_f64 v[52:53], v[252:253], v[42:43]
	v_mul_f64 v[50:51], v[80:81], v[22:23]
	s_waitcnt lgkmcnt(0)
	v_mul_f64 v[64:65], v[92:93], v[146:147]
	s_mov_b32 s24, 0xfd768dbf
	s_mov_b32 s25, 0xbfd207e7
	;; [unrolled: 1-line block ×6, first 2 shown]
	v_fma_f64 v[50:51], v[78:79], v[20:21], v[50:51]
	s_mov_b32 s18, 0xbb3a28a1
	s_mov_b32 s26, 0x8764f0ba
	s_mov_b32 s19, 0xbfe82f19
	s_mov_b32 s27, 0x3feaeb8c
	s_mov_b32 s20, 0x7f775887
	s_mov_b32 s11, 0x3fed1bb4
	s_mov_b32 s10, 0x8eee2c13
	s_mov_b32 s21, 0xbfe4f49e
	s_mov_b32 s2, 0x43842ef
	s_mov_b32 s16, 0xd9c712b6
	s_mov_b32 s3, 0xbfefac9e
	s_mov_b32 s17, 0x3fda9628
	s_mov_b32 s28, 0x640f44db
	s_mov_b32 s29, 0xbfc2375f
	s_mov_b32 s37, 0x3fefac9e
	s_mov_b32 s36, s2
	s_mov_b32 s35, 0xbfe14ced
	s_mov_b32 s34, s30
	s_mov_b32 s39, 0x3fd207e7
	s_mov_b32 s38, s24
	s_waitcnt vmcnt(4)
	v_mul_f64 v[32:33], v[60:61], v[26:27]
	s_waitcnt vmcnt(0)
	v_mul_f64 v[34:35], v[56:57], v[46:47]
	v_mul_f64 v[36:37], v[60:61], v[24:25]
	v_mul_f64 v[38:39], v[56:57], v[44:45]
	v_fma_f64 v[48:49], v[58:59], v[24:25], v[32:33]
	v_fma_f64 v[24:25], v[54:55], v[44:45], v[34:35]
	v_mul_f64 v[32:33], v[80:81], v[20:21]
	v_mul_f64 v[34:35], v[252:253], v[40:41]
	v_fma_f64 v[44:45], v[58:59], v[26:27], -v[36:37]
	v_fma_f64 v[26:27], v[250:251], v[40:41], v[52:53]
	v_fma_f64 v[40:41], v[54:55], v[46:47], -v[38:39]
	v_mul_f64 v[38:39], v[96:97], v[30:31]
	v_mul_f64 v[36:37], v[70:71], v[14:15]
	v_add_f64 v[46:47], v[48:49], -v[24:25]
	v_fma_f64 v[52:53], v[78:79], v[22:23], -v[32:33]
	v_fma_f64 v[42:43], v[250:251], v[42:43], -v[34:35]
	v_mul_f64 v[34:35], v[70:71], v[12:13]
	v_mul_f64 v[70:71], v[92:93], v[144:145]
	v_add_f64 v[54:55], v[50:51], -v[26:27]
	v_fma_f64 v[22:23], v[94:95], v[28:29], v[38:39]
	v_mul_f64 v[28:29], v[96:97], v[28:29]
	v_fma_f64 v[56:57], v[68:69], v[12:13], v[36:37]
	v_add_f64 v[104:105], v[44:45], -v[40:41]
	v_add_f64 v[98:99], v[52:53], -v[42:43]
	v_fma_f64 v[58:59], v[68:69], v[14:15], -v[34:35]
	v_mul_f64 v[34:35], v[76:77], v[6:7]
	v_mul_f64 v[68:69], v[76:77], v[4:5]
	;; [unrolled: 1-line block ×3, first 2 shown]
	v_fma_f64 v[14:15], v[94:95], v[30:31], -v[28:29]
	v_mul_f64 v[28:29], v[84:85], v[10:11]
	v_mul_f64 v[30:31], v[88:89], v[18:19]
	v_add_f64 v[62:63], v[56:57], -v[22:23]
	v_add_f64 v[100:101], v[56:57], v[22:23]
	v_fma_f64 v[72:73], v[74:75], v[4:5], v[34:35]
	v_mul_f64 v[4:5], v[84:85], v[8:9]
	v_fma_f64 v[76:77], v[74:75], v[6:7], -v[68:69]
	v_add_f64 v[94:95], v[58:59], -v[14:15]
	v_fma_f64 v[38:39], v[82:83], v[8:9], v[28:29]
	v_fma_f64 v[30:31], v[86:87], v[16:17], v[30:31]
	v_fma_f64 v[28:29], v[90:91], v[144:145], v[64:65]
	v_mul_f64 v[16:17], v[88:89], v[16:17]
	v_fma_f64 v[8:9], v[90:91], v[146:147], -v[70:71]
	v_fma_f64 v[82:83], v[82:83], v[10:11], -v[4:5]
	v_mul_f64 v[66:67], v[62:63], s[18:19]
	v_add_f64 v[60:61], v[58:59], v[14:15]
	v_mul_f64 v[70:71], v[94:95], s[18:19]
	v_add_f64 v[78:79], v[38:39], -v[30:31]
	v_add_f64 v[80:81], v[72:73], -v[28:29]
	v_fma_f64 v[10:11], v[86:87], v[18:19], -v[16:17]
	v_add_f64 v[84:85], v[76:77], -v[8:9]
	v_add_f64 v[86:87], v[76:77], v[8:9]
	v_add_f64 v[90:91], v[72:73], v[28:29]
	;; [unrolled: 1-line block ×4, first 2 shown]
	v_mul_f64 v[6:7], v[78:79], s[30:31]
	v_mul_f64 v[4:5], v[80:81], s[24:25]
	v_add_f64 v[88:89], v[82:83], -v[10:11]
	v_mul_f64 v[16:17], v[84:85], s[24:25]
	v_add_f64 v[92:93], v[82:83], v[10:11]
	v_fma_f64 v[102:103], v[60:61], s[20:21], v[66:67]
	v_add_f64 v[106:107], v[50:51], v[26:27]
	v_fma_f64 v[108:109], v[100:101], s[20:21], -v[70:71]
	v_mul_f64 v[110:111], v[104:105], s[2:3]
	v_fma_f64 v[18:19], v[86:87], s[22:23], v[4:5]
	v_mul_f64 v[34:35], v[88:89], s[30:31]
	v_fma_f64 v[64:65], v[90:91], s[22:23], -v[16:17]
	v_fma_f64 v[68:69], v[92:93], s[26:27], v[6:7]
	v_fma_f64 v[4:5], v[86:87], s[22:23], -v[4:5]
	v_fma_f64 v[6:7], v[92:93], s[26:27], -v[6:7]
	v_add_f64 v[20:21], v[44:45], v[40:41]
	v_mul_f64 v[32:33], v[46:47], s[2:3]
	v_add_f64 v[18:19], v[2:3], v[18:19]
	v_fma_f64 v[74:75], v[96:97], s[26:27], -v[34:35]
	v_add_f64 v[64:65], v[0:1], v[64:65]
	v_fma_f64 v[66:67], v[60:61], s[20:21], -v[66:67]
	v_add_f64 v[4:5], v[2:3], v[4:5]
	v_fma_f64 v[16:17], v[90:91], s[22:23], v[16:17]
	v_fma_f64 v[34:35], v[96:97], s[26:27], v[34:35]
	;; [unrolled: 1-line block ×3, first 2 shown]
	v_add_f64 v[18:19], v[68:69], v[18:19]
	v_mul_f64 v[68:69], v[98:99], s[10:11]
	v_add_f64 v[64:65], v[74:75], v[64:65]
	v_fma_f64 v[74:75], v[12:13], s[16:17], v[36:37]
	v_add_f64 v[4:5], v[6:7], v[4:5]
	v_fma_f64 v[6:7], v[20:21], s[28:29], v[32:33]
	v_fma_f64 v[36:37], v[12:13], s[16:17], -v[36:37]
	v_add_f64 v[16:17], v[0:1], v[16:17]
	v_add_f64 v[18:19], v[102:103], v[18:19]
	;; [unrolled: 1-line block ×3, first 2 shown]
	v_fma_f64 v[112:113], v[106:107], s[16:17], -v[68:69]
	v_add_f64 v[64:65], v[108:109], v[64:65]
	v_add_f64 v[66:67], v[66:67], v[4:5]
	v_mul_f64 v[116:117], v[94:95], s[34:35]
	v_mul_f64 v[134:135], v[54:55], s[36:37]
	v_add_f64 v[16:17], v[34:35], v[16:17]
	v_add_f64 v[18:19], v[74:75], v[18:19]
	v_fma_f64 v[74:75], v[102:103], s[28:29], -v[110:111]
	v_mul_f64 v[34:35], v[88:89], s[36:37]
	v_add_f64 v[64:65], v[112:113], v[64:65]
	v_mul_f64 v[112:113], v[62:63], s[34:35]
	v_fma_f64 v[122:123], v[100:101], s[26:27], -v[116:117]
	v_add_f64 v[76:77], v[2:3], v[76:77]
	v_add_f64 v[16:17], v[70:71], v[16:17]
	v_add_f64 v[6:7], v[6:7], v[18:19]
	v_fma_f64 v[18:19], v[20:21], s[28:29], -v[32:33]
	v_add_f64 v[32:33], v[36:37], v[66:67]
	v_add_f64 v[4:5], v[74:75], v[64:65]
	v_mul_f64 v[64:65], v[80:81], s[18:19]
	v_fma_f64 v[66:67], v[106:107], s[16:17], v[68:69]
	v_mul_f64 v[68:69], v[84:85], s[18:19]
	v_mul_f64 v[74:75], v[78:79], s[36:37]
	v_fma_f64 v[36:37], v[102:103], s[28:29], v[110:111]
	v_fma_f64 v[118:119], v[96:97], s[28:29], -v[34:35]
	v_mul_f64 v[70:71], v[54:55], s[24:25]
	v_fma_f64 v[120:121], v[60:61], s[26:27], v[112:113]
	v_fma_f64 v[108:109], v[86:87], s[20:21], v[64:65]
	v_fma_f64 v[64:65], v[86:87], s[20:21], -v[64:65]
	v_fma_f64 v[110:111], v[90:91], s[20:21], -v[68:69]
	v_fma_f64 v[114:115], v[92:93], s[28:29], v[74:75]
	v_fma_f64 v[74:75], v[92:93], s[28:29], -v[74:75]
	v_add_f64 v[16:17], v[66:67], v[16:17]
	v_fma_f64 v[124:125], v[12:13], s[22:23], v[70:71]
	v_fma_f64 v[66:67], v[60:61], s[26:27], -v[112:113]
	v_add_f64 v[108:109], v[2:3], v[108:109]
	v_add_f64 v[64:65], v[2:3], v[64:65]
	;; [unrolled: 1-line block ×3, first 2 shown]
	v_fma_f64 v[68:69], v[90:91], s[20:21], v[68:69]
	v_fma_f64 v[70:71], v[12:13], s[22:23], -v[70:71]
	v_add_f64 v[16:17], v[36:37], v[16:17]
	v_fma_f64 v[36:37], v[96:97], s[28:29], v[34:35]
	v_add_f64 v[18:19], v[18:19], v[32:33]
	v_add_f64 v[108:109], v[114:115], v[108:109]
	v_mul_f64 v[114:115], v[98:99], s[24:25]
	v_add_f64 v[110:111], v[118:119], v[110:111]
	v_mul_f64 v[118:119], v[46:47], s[10:11]
	v_add_f64 v[64:65], v[74:75], v[64:65]
	v_add_f64 v[72:73], v[0:1], v[72:73]
	;; [unrolled: 1-line block ×3, first 2 shown]
	v_fma_f64 v[138:139], v[12:13], s[28:29], v[134:135]
	v_add_f64 v[108:109], v[120:121], v[108:109]
	v_mul_f64 v[120:121], v[104:105], s[10:11]
	v_fma_f64 v[126:127], v[106:107], s[22:23], -v[114:115]
	v_add_f64 v[110:111], v[122:123], v[110:111]
	v_fma_f64 v[74:75], v[20:21], s[16:17], v[118:119]
	v_add_f64 v[64:65], v[66:67], v[64:65]
	v_add_f64 v[66:67], v[0:1], v[68:69]
	v_fma_f64 v[68:69], v[20:21], s[16:17], -v[118:119]
	v_add_f64 v[108:109], v[124:125], v[108:109]
	v_fma_f64 v[112:113], v[102:103], s[16:17], -v[120:121]
	v_mul_f64 v[122:123], v[94:95], s[10:11]
	v_add_f64 v[110:111], v[126:127], v[110:111]
	v_mul_f64 v[126:127], v[54:55], s[34:35]
	v_add_f64 v[64:65], v[70:71], v[64:65]
	v_fma_f64 v[70:71], v[100:101], s[26:27], v[116:117]
	v_add_f64 v[36:37], v[36:37], v[66:67]
	v_add_f64 v[34:35], v[74:75], v[108:109]
	v_mul_f64 v[74:75], v[80:81], s[2:3]
	v_mul_f64 v[108:109], v[84:85], s[2:3]
	v_add_f64 v[32:33], v[112:113], v[110:111]
	v_mul_f64 v[66:67], v[78:79], s[38:39]
	v_fma_f64 v[112:113], v[106:107], s[22:23], v[114:115]
	v_mul_f64 v[114:115], v[88:89], s[38:39]
	v_add_f64 v[36:37], v[70:71], v[36:37]
	v_fma_f64 v[130:131], v[100:101], s[16:17], -v[122:123]
	v_fma_f64 v[110:111], v[86:87], s[28:29], v[74:75]
	v_fma_f64 v[116:117], v[90:91], s[28:29], -v[108:109]
	v_fma_f64 v[70:71], v[86:87], s[28:29], -v[74:75]
	v_mul_f64 v[74:75], v[62:63], s[10:11]
	v_fma_f64 v[118:119], v[92:93], s[22:23], v[66:67]
	v_fma_f64 v[124:125], v[96:97], s[22:23], -v[114:115]
	v_fma_f64 v[66:67], v[92:93], s[22:23], -v[66:67]
	v_add_f64 v[36:37], v[112:113], v[36:37]
	v_add_f64 v[110:111], v[2:3], v[110:111]
	;; [unrolled: 1-line block ×4, first 2 shown]
	v_fma_f64 v[128:129], v[60:61], s[16:17], v[74:75]
	v_fma_f64 v[74:75], v[60:61], s[16:17], -v[74:75]
	s_mov_b32 s11, 0xbfed1bb4
	v_fma_f64 v[108:109], v[90:91], s[28:29], v[108:109]
	v_add_f64 v[72:73], v[72:73], v[38:39]
	v_add_f64 v[110:111], v[118:119], v[110:111]
	v_mul_f64 v[118:119], v[98:99], s[34:35]
	v_add_f64 v[116:117], v[124:125], v[116:117]
	v_add_f64 v[66:67], v[66:67], v[70:71]
	v_mul_f64 v[70:71], v[46:47], s[18:19]
	v_fma_f64 v[124:125], v[12:13], s[26:27], v[126:127]
	v_fma_f64 v[126:127], v[12:13], s[26:27], -v[126:127]
	v_add_f64 v[108:109], v[0:1], v[108:109]
	v_add_f64 v[110:111], v[128:129], v[110:111]
	v_mul_f64 v[128:129], v[104:105], s[18:19]
	v_fma_f64 v[132:133], v[106:107], s[26:27], -v[118:119]
	v_add_f64 v[116:117], v[130:131], v[116:117]
	v_add_f64 v[66:67], v[74:75], v[66:67]
	v_fma_f64 v[74:75], v[102:103], s[16:17], v[120:121]
	v_fma_f64 v[112:113], v[20:21], s[20:21], v[70:71]
	;; [unrolled: 1-line block ×3, first 2 shown]
	v_add_f64 v[110:111], v[124:125], v[110:111]
	v_fma_f64 v[120:121], v[102:103], s[20:21], -v[128:129]
	v_fma_f64 v[124:125], v[20:21], s[20:21], -v[70:71]
	v_add_f64 v[116:117], v[132:133], v[116:117]
	v_add_f64 v[126:127], v[126:127], v[66:67]
	v_add_f64 v[66:67], v[68:69], v[64:65]
	v_add_f64 v[64:65], v[74:75], v[36:37]
	v_mul_f64 v[36:37], v[80:81], s[10:11]
	v_add_f64 v[70:71], v[112:113], v[110:111]
	v_mul_f64 v[110:111], v[84:85], s[10:11]
	v_fma_f64 v[112:113], v[96:97], s[22:23], v[114:115]
	v_add_f64 v[68:69], v[120:121], v[116:117]
	v_add_f64 v[74:75], v[124:125], v[126:127]
	v_mul_f64 v[114:115], v[78:79], s[18:19]
	v_mul_f64 v[124:125], v[88:89], s[18:19]
	v_fma_f64 v[116:117], v[86:87], s[16:17], v[36:37]
	v_fma_f64 v[36:37], v[86:87], s[16:17], -v[36:37]
	v_fma_f64 v[126:127], v[90:91], s[16:17], -v[110:111]
	v_fma_f64 v[120:121], v[102:103], s[20:21], v[128:129]
	v_mul_f64 v[128:129], v[62:63], s[38:39]
	v_add_f64 v[108:109], v[112:113], v[108:109]
	v_fma_f64 v[130:131], v[92:93], s[20:21], v[114:115]
	v_fma_f64 v[112:113], v[106:107], s[26:27], v[118:119]
	v_add_f64 v[116:117], v[2:3], v[116:117]
	v_mul_f64 v[118:119], v[94:95], s[38:39]
	v_fma_f64 v[132:133], v[96:97], s[20:21], -v[124:125]
	v_add_f64 v[126:127], v[0:1], v[126:127]
	v_fma_f64 v[114:115], v[92:93], s[20:21], -v[114:115]
	v_add_f64 v[36:37], v[2:3], v[36:37]
	v_fma_f64 v[136:137], v[60:61], s[22:23], v[128:129]
	v_fma_f64 v[128:129], v[60:61], s[22:23], -v[128:129]
	v_add_f64 v[116:117], v[130:131], v[116:117]
	v_fma_f64 v[130:131], v[100:101], s[22:23], -v[118:119]
	v_add_f64 v[56:57], v[72:73], v[56:57]
	v_add_f64 v[126:127], v[132:133], v[126:127]
	v_mul_f64 v[132:133], v[46:47], s[30:31]
	v_add_f64 v[36:37], v[114:115], v[36:37]
	v_add_f64 v[108:109], v[122:123], v[108:109]
	v_fma_f64 v[110:111], v[90:91], s[16:17], v[110:111]
	v_mul_f64 v[80:81], v[80:81], s[34:35]
	v_fma_f64 v[124:125], v[96:97], s[20:21], v[124:125]
	v_add_f64 v[50:51], v[56:57], v[50:51]
	v_add_f64 v[126:127], v[130:131], v[126:127]
	v_fma_f64 v[130:131], v[12:13], s[28:29], -v[134:135]
	v_add_f64 v[36:37], v[128:129], v[36:37]
	v_fma_f64 v[128:129], v[20:21], s[26:27], -v[132:133]
	v_add_f64 v[108:109], v[112:113], v[108:109]
	v_fma_f64 v[112:113], v[20:21], s[26:27], v[132:133]
	v_add_f64 v[110:111], v[0:1], v[110:111]
	v_mul_f64 v[78:79], v[78:79], s[10:11]
	v_fma_f64 v[132:133], v[86:87], s[26:27], v[80:81]
	v_add_f64 v[48:49], v[50:51], v[48:49]
	v_add_f64 v[36:37], v[130:131], v[36:37]
	v_mul_f64 v[62:63], v[62:63], s[2:3]
	v_fma_f64 v[80:81], v[86:87], s[26:27], -v[80:81]
	v_mul_f64 v[122:123], v[98:99], s[36:37]
	v_add_f64 v[110:111], v[124:125], v[110:111]
	v_fma_f64 v[82:83], v[92:93], s[16:17], v[78:79]
	v_add_f64 v[124:125], v[2:3], v[132:133]
	v_add_f64 v[24:25], v[48:49], v[24:25]
	;; [unrolled: 1-line block ×3, first 2 shown]
	v_mul_f64 v[36:37], v[54:55], s[18:19]
	v_add_f64 v[54:55], v[76:77], v[58:59]
	v_fma_f64 v[118:119], v[100:101], s[22:23], v[118:119]
	v_fma_f64 v[58:59], v[60:61], s[28:29], v[62:63]
	v_fma_f64 v[78:79], v[92:93], s[16:17], -v[78:79]
	v_add_f64 v[72:73], v[82:83], v[124:125]
	v_add_f64 v[2:3], v[2:3], v[80:81]
	;; [unrolled: 1-line block ×3, first 2 shown]
	v_fma_f64 v[140:141], v[106:107], s[28:29], -v[122:123]
	v_add_f64 v[52:53], v[54:55], v[52:53]
	v_mul_f64 v[54:55], v[84:85], s[34:35]
	v_mul_f64 v[84:85], v[88:89], s[10:11]
	v_fma_f64 v[122:123], v[106:107], s[28:29], v[122:123]
	v_add_f64 v[110:111], v[118:119], v[110:111]
	v_add_f64 v[56:57], v[58:59], v[72:73]
	v_mul_f64 v[72:73], v[98:99], s[18:19]
	v_add_f64 v[2:3], v[78:79], v[2:3]
	v_add_f64 v[44:45], v[52:53], v[44:45]
	v_fma_f64 v[50:51], v[90:91], s[26:27], v[54:55]
	v_fma_f64 v[54:55], v[90:91], s[26:27], -v[54:55]
	v_mul_f64 v[52:53], v[94:95], s[2:3]
	v_fma_f64 v[80:81], v[96:97], s[16:17], v[84:85]
	v_fma_f64 v[48:49], v[96:97], s[16:17], -v[84:85]
	v_add_f64 v[22:23], v[24:25], v[22:23]
	v_add_f64 v[82:83], v[122:123], v[110:111]
	;; [unrolled: 1-line block ×5, first 2 shown]
	v_fma_f64 v[50:51], v[60:61], s[28:29], -v[62:63]
	v_fma_f64 v[54:55], v[100:101], s[28:29], v[52:53]
	v_mul_f64 v[46:47], v[46:47], s[24:25]
	v_fma_f64 v[110:111], v[12:13], s[20:21], v[36:37]
	v_mul_f64 v[58:59], v[104:105], s[24:25]
	v_add_f64 v[40:41], v[40:41], v[42:43]
	v_add_f64 v[26:27], v[80:81], v[44:45]
	v_fma_f64 v[42:43], v[100:101], s[28:29], -v[52:53]
	v_add_f64 v[0:1], v[48:49], v[0:1]
	v_fma_f64 v[12:13], v[12:13], s[20:21], -v[36:37]
	v_add_f64 v[2:3], v[50:51], v[2:3]
	v_fma_f64 v[36:37], v[106:107], s[20:21], v[72:73]
	v_add_f64 v[116:117], v[136:137], v[116:117]
	v_add_f64 v[14:15], v[40:41], v[14:15]
	;; [unrolled: 1-line block ×3, first 2 shown]
	v_mul_f64 v[136:137], v[104:105], s[30:31]
	v_fma_f64 v[26:27], v[106:107], s[20:21], -v[72:73]
	v_add_f64 v[0:1], v[42:43], v[0:1]
	v_fma_f64 v[40:41], v[20:21], s[22:23], -v[46:47]
	v_add_f64 v[2:3], v[12:13], v[2:3]
	v_fma_f64 v[12:13], v[102:103], s[22:23], v[58:59]
	v_add_f64 v[10:11], v[14:15], v[10:11]
	v_add_f64 v[14:15], v[22:23], v[30:31]
	;; [unrolled: 1-line block ×3, first 2 shown]
	v_fma_f64 v[76:77], v[102:103], s[26:27], v[136:137]
	v_add_f64 v[114:115], v[138:139], v[116:117]
	v_fma_f64 v[116:117], v[102:103], s[26:27], -v[136:137]
	v_add_f64 v[126:127], v[140:141], v[126:127]
	v_fma_f64 v[20:21], v[20:21], s[22:23], v[46:47]
	v_add_f64 v[24:25], v[110:111], v[56:57]
	v_fma_f64 v[30:31], v[102:103], s[22:23], -v[58:59]
	v_add_f64 v[26:27], v[26:27], v[0:1]
	v_add_f64 v[10:11], v[10:11], v[8:9]
	;; [unrolled: 1-line block ×11, first 2 shown]
	ds_write_b128 v255, v[8:11]
	ds_write_b128 v255, v[0:3] offset:2720
	ds_write_b128 v255, v[36:39] offset:5440
	;; [unrolled: 1-line block ×10, first 2 shown]
.LBB0_21:
	s_or_b64 exec, exec, s[8:9]
	s_waitcnt lgkmcnt(0)
	s_barrier
	s_and_b64 exec, exec, s[0:1]
	s_cbranch_execz .LBB0_23
; %bb.22:
	global_load_dwordx4 v[0:3], v255, s[12:13]
	buffer_load_dword v22, off, s[64:67], 0 offset:32 ; 4-byte Folded Reload
	buffer_load_dword v23, off, s[64:67], 0 offset:36 ; 4-byte Folded Reload
	ds_read_b128 v[4:7], v255
	v_mad_u64_u32 v[14:15], s[0:1], s4, v180, 0
	ds_read_b128 v[8:11], v255 offset:1760
	ds_read_b128 v[16:19], v255 offset:28160
	s_mul_i32 s3, s5, 0x6e0
	s_mul_i32 s2, s4, 0x6e0
	s_waitcnt vmcnt(2) lgkmcnt(2)
	v_mul_f64 v[20:21], v[6:7], v[2:3]
	v_mul_f64 v[2:3], v[4:5], v[2:3]
	s_waitcnt vmcnt(1)
	v_mad_u64_u32 v[12:13], s[0:1], s6, v22, 0
	s_waitcnt vmcnt(0)
	v_mad_u64_u32 v[22:23], s[0:1], s7, v22, v[13:14]
	v_fma_f64 v[4:5], v[4:5], v[0:1], v[20:21]
	v_fma_f64 v[2:3], v[0:1], v[6:7], -v[2:3]
	s_waitcnt lgkmcnt(0)
	v_mad_u64_u32 v[23:24], s[0:1], s5, v180, v[15:16]
	s_mov_b32 s0, 0xfa401186
	s_mov_b32 s1, 0x3f4185e2
	v_mov_b32_e32 v13, v22
	v_lshlrev_b64 v[6:7], 4, v[12:13]
	v_mul_f64 v[0:1], v[4:5], s[0:1]
	v_mul_f64 v[2:3], v[2:3], s[0:1]
	v_mov_b32_e32 v15, v23
	v_mov_b32_e32 v20, s15
	v_lshlrev_b64 v[12:13], 4, v[14:15]
	v_add_co_u32_e32 v4, vcc, s14, v6
	v_addc_co_u32_e32 v5, vcc, v20, v7, vcc
	v_add_co_u32_e32 v4, vcc, v4, v12
	v_addc_co_u32_e32 v5, vcc, v5, v13, vcc
	global_store_dwordx4 v[4:5], v[0:3], off
	global_load_dwordx4 v[0:3], v255, s[12:13] offset:1760
	s_mul_hi_u32 s5, s4, 0x6e0
	s_add_i32 s3, s5, s3
	v_add_co_u32_e32 v12, vcc, s2, v4
	v_mov_b32_e32 v20, s13
	s_movk_i32 s4, 0x1000
	s_waitcnt vmcnt(0)
	v_mul_f64 v[6:7], v[10:11], v[2:3]
	v_mul_f64 v[2:3], v[8:9], v[2:3]
	v_fma_f64 v[6:7], v[8:9], v[0:1], v[6:7]
	v_fma_f64 v[2:3], v[0:1], v[10:11], -v[2:3]
	v_mul_f64 v[0:1], v[6:7], s[0:1]
	v_mul_f64 v[2:3], v[2:3], s[0:1]
	v_mov_b32_e32 v6, s3
	v_addc_co_u32_e32 v13, vcc, v5, v6, vcc
	v_add_co_u32_e32 v22, vcc, s12, v255
	v_addc_co_u32_e32 v23, vcc, 0, v20, vcc
	global_store_dwordx4 v[12:13], v[0:3], off
	global_load_dwordx4 v[0:3], v255, s[12:13] offset:3520
	ds_read_b128 v[4:7], v255 offset:3520
	ds_read_b128 v[8:11], v255 offset:5280
	s_waitcnt vmcnt(0) lgkmcnt(1)
	v_mul_f64 v[14:15], v[6:7], v[2:3]
	v_mul_f64 v[2:3], v[4:5], v[2:3]
	v_fma_f64 v[4:5], v[4:5], v[0:1], v[14:15]
	v_fma_f64 v[2:3], v[0:1], v[6:7], -v[2:3]
	v_mov_b32_e32 v7, s3
	v_mul_f64 v[0:1], v[4:5], s[0:1]
	v_mul_f64 v[2:3], v[2:3], s[0:1]
	v_add_co_u32_e32 v4, vcc, s4, v22
	v_addc_co_u32_e32 v5, vcc, 0, v23, vcc
	v_add_co_u32_e32 v6, vcc, s2, v12
	v_addc_co_u32_e32 v7, vcc, v13, v7, vcc
	global_store_dwordx4 v[6:7], v[0:3], off
	global_load_dwordx4 v[0:3], v[4:5], off offset:1184
	s_movk_i32 s4, 0x2000
	s_waitcnt vmcnt(0) lgkmcnt(0)
	v_mul_f64 v[12:13], v[10:11], v[2:3]
	v_mul_f64 v[2:3], v[8:9], v[2:3]
	v_fma_f64 v[8:9], v[8:9], v[0:1], v[12:13]
	v_fma_f64 v[2:3], v[0:1], v[10:11], -v[2:3]
	v_add_co_u32_e32 v12, vcc, s2, v6
	v_mul_f64 v[0:1], v[8:9], s[0:1]
	v_mul_f64 v[2:3], v[2:3], s[0:1]
	v_mov_b32_e32 v8, s3
	v_addc_co_u32_e32 v13, vcc, v7, v8, vcc
	global_store_dwordx4 v[12:13], v[0:3], off
	global_load_dwordx4 v[0:3], v[4:5], off offset:2944
	ds_read_b128 v[4:7], v255 offset:7040
	ds_read_b128 v[8:11], v255 offset:8800
	s_waitcnt vmcnt(0) lgkmcnt(1)
	v_mul_f64 v[14:15], v[6:7], v[2:3]
	v_mul_f64 v[2:3], v[4:5], v[2:3]
	v_fma_f64 v[4:5], v[4:5], v[0:1], v[14:15]
	v_fma_f64 v[2:3], v[0:1], v[6:7], -v[2:3]
	v_mov_b32_e32 v7, s3
	v_mul_f64 v[0:1], v[4:5], s[0:1]
	v_mul_f64 v[2:3], v[2:3], s[0:1]
	v_add_co_u32_e32 v4, vcc, s4, v22
	v_addc_co_u32_e32 v5, vcc, 0, v23, vcc
	v_add_co_u32_e32 v6, vcc, s2, v12
	v_addc_co_u32_e32 v7, vcc, v13, v7, vcc
	global_store_dwordx4 v[6:7], v[0:3], off
	global_load_dwordx4 v[0:3], v[4:5], off offset:608
	s_movk_i32 s4, 0x3000
	s_waitcnt vmcnt(0) lgkmcnt(0)
	v_mul_f64 v[12:13], v[10:11], v[2:3]
	v_mul_f64 v[2:3], v[8:9], v[2:3]
	v_fma_f64 v[8:9], v[8:9], v[0:1], v[12:13]
	v_fma_f64 v[2:3], v[0:1], v[10:11], -v[2:3]
	v_add_co_u32_e32 v12, vcc, s2, v6
	v_mul_f64 v[0:1], v[8:9], s[0:1]
	v_mul_f64 v[2:3], v[2:3], s[0:1]
	v_mov_b32_e32 v8, s3
	v_addc_co_u32_e32 v13, vcc, v7, v8, vcc
	global_store_dwordx4 v[12:13], v[0:3], off
	global_load_dwordx4 v[0:3], v[4:5], off offset:2368
	ds_read_b128 v[4:7], v255 offset:10560
	ds_read_b128 v[8:11], v255 offset:12320
	s_waitcnt vmcnt(0) lgkmcnt(1)
	v_mul_f64 v[14:15], v[6:7], v[2:3]
	v_mul_f64 v[2:3], v[4:5], v[2:3]
	v_fma_f64 v[4:5], v[4:5], v[0:1], v[14:15]
	v_fma_f64 v[2:3], v[0:1], v[6:7], -v[2:3]
	v_add_co_u32_e32 v14, vcc, s4, v22
	v_addc_co_u32_e32 v15, vcc, 0, v23, vcc
	v_mov_b32_e32 v6, s3
	s_movk_i32 s4, 0x4000
	v_mul_f64 v[0:1], v[4:5], s[0:1]
	v_mul_f64 v[2:3], v[2:3], s[0:1]
	v_add_co_u32_e32 v4, vcc, s2, v12
	v_addc_co_u32_e32 v5, vcc, v13, v6, vcc
	v_add_co_u32_e32 v12, vcc, s2, v4
	global_store_dwordx4 v[4:5], v[0:3], off
	global_load_dwordx4 v[0:3], v[14:15], off offset:32
	s_waitcnt vmcnt(0) lgkmcnt(0)
	v_mul_f64 v[6:7], v[10:11], v[2:3]
	v_mul_f64 v[2:3], v[8:9], v[2:3]
	v_fma_f64 v[6:7], v[8:9], v[0:1], v[6:7]
	v_fma_f64 v[2:3], v[0:1], v[10:11], -v[2:3]
	v_mul_f64 v[0:1], v[6:7], s[0:1]
	v_mul_f64 v[2:3], v[2:3], s[0:1]
	v_mov_b32_e32 v6, s3
	v_addc_co_u32_e32 v13, vcc, v5, v6, vcc
	global_store_dwordx4 v[12:13], v[0:3], off
	global_load_dwordx4 v[0:3], v[14:15], off offset:1792
	ds_read_b128 v[4:7], v255 offset:14080
	ds_read_b128 v[8:11], v255 offset:15840
	s_waitcnt vmcnt(0) lgkmcnt(1)
	v_mul_f64 v[20:21], v[6:7], v[2:3]
	v_mul_f64 v[2:3], v[4:5], v[2:3]
	v_fma_f64 v[4:5], v[4:5], v[0:1], v[20:21]
	v_fma_f64 v[2:3], v[0:1], v[6:7], -v[2:3]
	v_mul_f64 v[0:1], v[4:5], s[0:1]
	v_mul_f64 v[2:3], v[2:3], s[0:1]
	v_mov_b32_e32 v5, s3
	v_add_co_u32_e32 v4, vcc, s2, v12
	v_addc_co_u32_e32 v5, vcc, v13, v5, vcc
	v_add_co_u32_e32 v12, vcc, s4, v22
	global_store_dwordx4 v[4:5], v[0:3], off
	global_load_dwordx4 v[0:3], v[14:15], off offset:3552
	v_addc_co_u32_e32 v13, vcc, 0, v23, vcc
	v_add_co_u32_e32 v14, vcc, s2, v4
	s_movk_i32 s4, 0x5000
	s_waitcnt vmcnt(0) lgkmcnt(0)
	v_mul_f64 v[6:7], v[10:11], v[2:3]
	v_mul_f64 v[2:3], v[8:9], v[2:3]
	v_fma_f64 v[6:7], v[8:9], v[0:1], v[6:7]
	v_fma_f64 v[2:3], v[0:1], v[10:11], -v[2:3]
	v_mov_b32_e32 v8, s3
	v_addc_co_u32_e32 v15, vcc, v5, v8, vcc
	v_mul_f64 v[0:1], v[6:7], s[0:1]
	v_mul_f64 v[2:3], v[2:3], s[0:1]
	global_store_dwordx4 v[14:15], v[0:3], off
	global_load_dwordx4 v[0:3], v[12:13], off offset:1216
	ds_read_b128 v[4:7], v255 offset:17600
	ds_read_b128 v[8:11], v255 offset:19360
	s_waitcnt vmcnt(0) lgkmcnt(1)
	v_mul_f64 v[20:21], v[6:7], v[2:3]
	v_mul_f64 v[2:3], v[4:5], v[2:3]
	v_fma_f64 v[4:5], v[4:5], v[0:1], v[20:21]
	v_fma_f64 v[2:3], v[0:1], v[6:7], -v[2:3]
	v_mul_f64 v[0:1], v[4:5], s[0:1]
	v_mul_f64 v[2:3], v[2:3], s[0:1]
	v_mov_b32_e32 v5, s3
	v_add_co_u32_e32 v4, vcc, s2, v14
	v_addc_co_u32_e32 v5, vcc, v15, v5, vcc
	global_store_dwordx4 v[4:5], v[0:3], off
	global_load_dwordx4 v[0:3], v[12:13], off offset:2976
	v_add_co_u32_e32 v12, vcc, s4, v22
	v_addc_co_u32_e32 v13, vcc, 0, v23, vcc
	v_add_co_u32_e32 v14, vcc, s2, v4
	s_movk_i32 s4, 0x6000
	s_waitcnt vmcnt(0) lgkmcnt(0)
	v_mul_f64 v[6:7], v[10:11], v[2:3]
	v_mul_f64 v[2:3], v[8:9], v[2:3]
	v_fma_f64 v[6:7], v[8:9], v[0:1], v[6:7]
	v_fma_f64 v[2:3], v[0:1], v[10:11], -v[2:3]
	v_mov_b32_e32 v8, s3
	v_addc_co_u32_e32 v15, vcc, v5, v8, vcc
	v_mul_f64 v[0:1], v[6:7], s[0:1]
	v_mul_f64 v[2:3], v[2:3], s[0:1]
	global_store_dwordx4 v[14:15], v[0:3], off
	global_load_dwordx4 v[0:3], v[12:13], off offset:640
	ds_read_b128 v[4:7], v255 offset:21120
	ds_read_b128 v[8:11], v255 offset:22880
	s_waitcnt vmcnt(0) lgkmcnt(1)
	v_mul_f64 v[20:21], v[6:7], v[2:3]
	v_mul_f64 v[2:3], v[4:5], v[2:3]
	v_fma_f64 v[4:5], v[4:5], v[0:1], v[20:21]
	v_fma_f64 v[2:3], v[0:1], v[6:7], -v[2:3]
	v_mul_f64 v[0:1], v[4:5], s[0:1]
	v_mul_f64 v[2:3], v[2:3], s[0:1]
	v_mov_b32_e32 v5, s3
	v_add_co_u32_e32 v4, vcc, s2, v14
	v_addc_co_u32_e32 v5, vcc, v15, v5, vcc
	global_store_dwordx4 v[4:5], v[0:3], off
	global_load_dwordx4 v[0:3], v[12:13], off offset:2400
	v_add_co_u32_e32 v12, vcc, s4, v22
	v_addc_co_u32_e32 v13, vcc, 0, v23, vcc
	v_add_co_u32_e32 v14, vcc, s2, v4
	s_waitcnt vmcnt(0) lgkmcnt(0)
	v_mul_f64 v[6:7], v[10:11], v[2:3]
	v_mul_f64 v[2:3], v[8:9], v[2:3]
	v_fma_f64 v[6:7], v[8:9], v[0:1], v[6:7]
	v_fma_f64 v[2:3], v[0:1], v[10:11], -v[2:3]
	v_mov_b32_e32 v8, s3
	v_addc_co_u32_e32 v15, vcc, v5, v8, vcc
	v_mul_f64 v[0:1], v[6:7], s[0:1]
	v_mul_f64 v[2:3], v[2:3], s[0:1]
	global_store_dwordx4 v[14:15], v[0:3], off
	global_load_dwordx4 v[0:3], v[12:13], off offset:64
	ds_read_b128 v[4:7], v255 offset:24640
	ds_read_b128 v[8:11], v255 offset:26400
	s_waitcnt vmcnt(0) lgkmcnt(1)
	v_mul_f64 v[20:21], v[6:7], v[2:3]
	v_mul_f64 v[2:3], v[4:5], v[2:3]
	v_fma_f64 v[4:5], v[4:5], v[0:1], v[20:21]
	v_fma_f64 v[2:3], v[0:1], v[6:7], -v[2:3]
	v_mul_f64 v[0:1], v[4:5], s[0:1]
	v_mul_f64 v[2:3], v[2:3], s[0:1]
	v_mov_b32_e32 v5, s3
	v_add_co_u32_e32 v4, vcc, s2, v14
	v_addc_co_u32_e32 v5, vcc, v15, v5, vcc
	global_store_dwordx4 v[4:5], v[0:3], off
	global_load_dwordx4 v[0:3], v[12:13], off offset:1824
	v_add_co_u32_e32 v4, vcc, s2, v4
	s_waitcnt vmcnt(0) lgkmcnt(0)
	v_mul_f64 v[6:7], v[10:11], v[2:3]
	v_mul_f64 v[2:3], v[8:9], v[2:3]
	v_fma_f64 v[6:7], v[8:9], v[0:1], v[6:7]
	v_fma_f64 v[2:3], v[0:1], v[10:11], -v[2:3]
	v_mul_f64 v[0:1], v[6:7], s[0:1]
	v_mul_f64 v[2:3], v[2:3], s[0:1]
	v_mov_b32_e32 v6, s3
	v_addc_co_u32_e32 v5, vcc, v5, v6, vcc
	global_store_dwordx4 v[4:5], v[0:3], off
	global_load_dwordx4 v[0:3], v[12:13], off offset:3584
	v_add_co_u32_e32 v4, vcc, s2, v4
	s_waitcnt vmcnt(0)
	v_mul_f64 v[6:7], v[18:19], v[2:3]
	v_mul_f64 v[2:3], v[16:17], v[2:3]
	v_fma_f64 v[6:7], v[16:17], v[0:1], v[6:7]
	v_fma_f64 v[2:3], v[0:1], v[18:19], -v[2:3]
	v_mul_f64 v[0:1], v[6:7], s[0:1]
	v_mul_f64 v[2:3], v[2:3], s[0:1]
	v_mov_b32_e32 v6, s3
	v_addc_co_u32_e32 v5, vcc, v5, v6, vcc
	global_store_dwordx4 v[4:5], v[0:3], off
.LBB0_23:
	s_endpgm
	.section	.rodata,"a",@progbits
	.p2align	6, 0x0
	.amdhsa_kernel bluestein_single_back_len1870_dim1_dp_op_CI_CI
		.amdhsa_group_segment_fixed_size 29920
		.amdhsa_private_segment_fixed_size 716
		.amdhsa_kernarg_size 104
		.amdhsa_user_sgpr_count 6
		.amdhsa_user_sgpr_private_segment_buffer 1
		.amdhsa_user_sgpr_dispatch_ptr 0
		.amdhsa_user_sgpr_queue_ptr 0
		.amdhsa_user_sgpr_kernarg_segment_ptr 1
		.amdhsa_user_sgpr_dispatch_id 0
		.amdhsa_user_sgpr_flat_scratch_init 0
		.amdhsa_user_sgpr_private_segment_size 0
		.amdhsa_uses_dynamic_stack 0
		.amdhsa_system_sgpr_private_segment_wavefront_offset 1
		.amdhsa_system_sgpr_workgroup_id_x 1
		.amdhsa_system_sgpr_workgroup_id_y 0
		.amdhsa_system_sgpr_workgroup_id_z 0
		.amdhsa_system_sgpr_workgroup_info 0
		.amdhsa_system_vgpr_workitem_id 0
		.amdhsa_next_free_vgpr 256
		.amdhsa_next_free_sgpr 68
		.amdhsa_reserve_vcc 1
		.amdhsa_reserve_flat_scratch 0
		.amdhsa_float_round_mode_32 0
		.amdhsa_float_round_mode_16_64 0
		.amdhsa_float_denorm_mode_32 3
		.amdhsa_float_denorm_mode_16_64 3
		.amdhsa_dx10_clamp 1
		.amdhsa_ieee_mode 1
		.amdhsa_fp16_overflow 0
		.amdhsa_exception_fp_ieee_invalid_op 0
		.amdhsa_exception_fp_denorm_src 0
		.amdhsa_exception_fp_ieee_div_zero 0
		.amdhsa_exception_fp_ieee_overflow 0
		.amdhsa_exception_fp_ieee_underflow 0
		.amdhsa_exception_fp_ieee_inexact 0
		.amdhsa_exception_int_div_zero 0
	.end_amdhsa_kernel
	.text
.Lfunc_end0:
	.size	bluestein_single_back_len1870_dim1_dp_op_CI_CI, .Lfunc_end0-bluestein_single_back_len1870_dim1_dp_op_CI_CI
                                        ; -- End function
	.section	.AMDGPU.csdata,"",@progbits
; Kernel info:
; codeLenInByte = 32368
; NumSgprs: 72
; NumVgprs: 256
; ScratchSize: 716
; MemoryBound: 0
; FloatMode: 240
; IeeeMode: 1
; LDSByteSize: 29920 bytes/workgroup (compile time only)
; SGPRBlocks: 8
; VGPRBlocks: 63
; NumSGPRsForWavesPerEU: 72
; NumVGPRsForWavesPerEU: 256
; Occupancy: 1
; WaveLimiterHint : 1
; COMPUTE_PGM_RSRC2:SCRATCH_EN: 1
; COMPUTE_PGM_RSRC2:USER_SGPR: 6
; COMPUTE_PGM_RSRC2:TRAP_HANDLER: 0
; COMPUTE_PGM_RSRC2:TGID_X_EN: 1
; COMPUTE_PGM_RSRC2:TGID_Y_EN: 0
; COMPUTE_PGM_RSRC2:TGID_Z_EN: 0
; COMPUTE_PGM_RSRC2:TIDIG_COMP_CNT: 0
	.type	__hip_cuid_db0e592970e1f9cb,@object ; @__hip_cuid_db0e592970e1f9cb
	.section	.bss,"aw",@nobits
	.globl	__hip_cuid_db0e592970e1f9cb
__hip_cuid_db0e592970e1f9cb:
	.byte	0                               ; 0x0
	.size	__hip_cuid_db0e592970e1f9cb, 1

	.ident	"AMD clang version 19.0.0git (https://github.com/RadeonOpenCompute/llvm-project roc-6.4.0 25133 c7fe45cf4b819c5991fe208aaa96edf142730f1d)"
	.section	".note.GNU-stack","",@progbits
	.addrsig
	.addrsig_sym __hip_cuid_db0e592970e1f9cb
	.amdgpu_metadata
---
amdhsa.kernels:
  - .args:
      - .actual_access:  read_only
        .address_space:  global
        .offset:         0
        .size:           8
        .value_kind:     global_buffer
      - .actual_access:  read_only
        .address_space:  global
        .offset:         8
        .size:           8
        .value_kind:     global_buffer
      - .actual_access:  read_only
        .address_space:  global
        .offset:         16
        .size:           8
        .value_kind:     global_buffer
      - .actual_access:  read_only
        .address_space:  global
        .offset:         24
        .size:           8
        .value_kind:     global_buffer
      - .actual_access:  read_only
        .address_space:  global
        .offset:         32
        .size:           8
        .value_kind:     global_buffer
      - .offset:         40
        .size:           8
        .value_kind:     by_value
      - .address_space:  global
        .offset:         48
        .size:           8
        .value_kind:     global_buffer
      - .address_space:  global
        .offset:         56
        .size:           8
        .value_kind:     global_buffer
      - .address_space:  global
        .offset:         64
        .size:           8
        .value_kind:     global_buffer
      - .address_space:  global
        .offset:         72
        .size:           8
        .value_kind:     global_buffer
      - .offset:         80
        .size:           4
        .value_kind:     by_value
      - .address_space:  global
        .offset:         88
        .size:           8
        .value_kind:     global_buffer
      - .address_space:  global
        .offset:         96
        .size:           8
        .value_kind:     global_buffer
    .group_segment_fixed_size: 29920
    .kernarg_segment_align: 8
    .kernarg_segment_size: 104
    .language:       OpenCL C
    .language_version:
      - 2
      - 0
    .max_flat_workgroup_size: 187
    .name:           bluestein_single_back_len1870_dim1_dp_op_CI_CI
    .private_segment_fixed_size: 716
    .sgpr_count:     72
    .sgpr_spill_count: 0
    .symbol:         bluestein_single_back_len1870_dim1_dp_op_CI_CI.kd
    .uniform_work_group_size: 1
    .uses_dynamic_stack: false
    .vgpr_count:     256
    .vgpr_spill_count: 216
    .wavefront_size: 64
amdhsa.target:   amdgcn-amd-amdhsa--gfx906
amdhsa.version:
  - 1
  - 2
...

	.end_amdgpu_metadata
